;; amdgpu-corpus repo=ROCm/aiter kind=compiled arch=gfx1100 opt=O3
	.text
	.amdgcn_target "amdgcn-amd-amdhsa--gfx1100"
	.amdhsa_code_object_version 6
	.section	.text._ZN7ck_tileL11flush_cacheEv,"axG",@progbits,_ZN7ck_tileL11flush_cacheEv,comdat
	.globl	_ZN7ck_tileL11flush_cacheEv     ; -- Begin function _ZN7ck_tileL11flush_cacheEv
	.p2align	8
	.type	_ZN7ck_tileL11flush_cacheEv,@function
_ZN7ck_tileL11flush_cacheEv:            ; @_ZN7ck_tileL11flush_cacheEv
; %bb.0:
	;;#ASMSTART
	s_icache_inv 
	s_nop 0 
	s_nop 0 
	;; [unrolled: 1-line block ×16, first 2 shown]
	
	;;#ASMEND
	s_endpgm
	.section	.rodata,"a",@progbits
	.p2align	6, 0x0
	.amdhsa_kernel _ZN7ck_tileL11flush_cacheEv
		.amdhsa_group_segment_fixed_size 0
		.amdhsa_private_segment_fixed_size 0
		.amdhsa_kernarg_size 0
		.amdhsa_user_sgpr_count 15
		.amdhsa_user_sgpr_dispatch_ptr 0
		.amdhsa_user_sgpr_queue_ptr 0
		.amdhsa_user_sgpr_kernarg_segment_ptr 0
		.amdhsa_user_sgpr_dispatch_id 0
		.amdhsa_user_sgpr_private_segment_size 0
		.amdhsa_wavefront_size32 1
		.amdhsa_uses_dynamic_stack 0
		.amdhsa_enable_private_segment 0
		.amdhsa_system_sgpr_workgroup_id_x 1
		.amdhsa_system_sgpr_workgroup_id_y 0
		.amdhsa_system_sgpr_workgroup_id_z 0
		.amdhsa_system_sgpr_workgroup_info 0
		.amdhsa_system_vgpr_workitem_id 0
		.amdhsa_next_free_vgpr 1
		.amdhsa_next_free_sgpr 1
		.amdhsa_reserve_vcc 0
		.amdhsa_float_round_mode_32 0
		.amdhsa_float_round_mode_16_64 0
		.amdhsa_float_denorm_mode_32 3
		.amdhsa_float_denorm_mode_16_64 3
		.amdhsa_dx10_clamp 1
		.amdhsa_ieee_mode 1
		.amdhsa_fp16_overflow 0
		.amdhsa_workgroup_processor_mode 1
		.amdhsa_memory_ordered 1
		.amdhsa_forward_progress 0
		.amdhsa_shared_vgpr_count 0
		.amdhsa_exception_fp_ieee_invalid_op 0
		.amdhsa_exception_fp_denorm_src 0
		.amdhsa_exception_fp_ieee_div_zero 0
		.amdhsa_exception_fp_ieee_overflow 0
		.amdhsa_exception_fp_ieee_underflow 0
		.amdhsa_exception_fp_ieee_inexact 0
		.amdhsa_exception_int_div_zero 0
	.end_amdhsa_kernel
	.section	.text._ZN7ck_tileL11flush_cacheEv,"axG",@progbits,_ZN7ck_tileL11flush_cacheEv,comdat
.Lfunc_end0:
	.size	_ZN7ck_tileL11flush_cacheEv, .Lfunc_end0-_ZN7ck_tileL11flush_cacheEv
                                        ; -- End function
	.section	.AMDGPU.csdata,"",@progbits
; Kernel info:
; codeLenInByte = 344
; NumSgprs: 0
; NumVgprs: 0
; ScratchSize: 0
; MemoryBound: 0
; FloatMode: 240
; IeeeMode: 1
; LDSByteSize: 0 bytes/workgroup (compile time only)
; SGPRBlocks: 0
; VGPRBlocks: 0
; NumSGPRsForWavesPerEU: 1
; NumVGPRsForWavesPerEU: 1
; Occupancy: 16
; WaveLimiterHint : 0
; COMPUTE_PGM_RSRC2:SCRATCH_EN: 0
; COMPUTE_PGM_RSRC2:USER_SGPR: 15
; COMPUTE_PGM_RSRC2:TRAP_HANDLER: 0
; COMPUTE_PGM_RSRC2:TGID_X_EN: 1
; COMPUTE_PGM_RSRC2:TGID_Y_EN: 0
; COMPUTE_PGM_RSRC2:TGID_Z_EN: 0
; COMPUTE_PGM_RSRC2:TIDIG_COMP_CNT: 0
	.section	.text._ZN5aiter50hadamard_rotate_activation_fp4quant_inplace_kernelIDF16_Li128ELb1ELi16EEEvPT_PKS1_iii,"axG",@progbits,_ZN5aiter50hadamard_rotate_activation_fp4quant_inplace_kernelIDF16_Li128ELb1ELi16EEEvPT_PKS1_iii,comdat
	.protected	_ZN5aiter50hadamard_rotate_activation_fp4quant_inplace_kernelIDF16_Li128ELb1ELi16EEEvPT_PKS1_iii ; -- Begin function _ZN5aiter50hadamard_rotate_activation_fp4quant_inplace_kernelIDF16_Li128ELb1ELi16EEEvPT_PKS1_iii
	.globl	_ZN5aiter50hadamard_rotate_activation_fp4quant_inplace_kernelIDF16_Li128ELb1ELi16EEEvPT_PKS1_iii
	.p2align	8
	.type	_ZN5aiter50hadamard_rotate_activation_fp4quant_inplace_kernelIDF16_Li128ELb1ELi16EEEvPT_PKS1_iii,@function
_ZN5aiter50hadamard_rotate_activation_fp4quant_inplace_kernelIDF16_Li128ELb1ELi16EEEvPT_PKS1_iii: ; @_ZN5aiter50hadamard_rotate_activation_fp4quant_inplace_kernelIDF16_Li128ELb1ELi16EEEvPT_PKS1_iii
; %bb.0:
	s_clause 0x1
	s_load_b64 s[6:7], s[0:1], 0x10
	s_load_b64 s[4:5], s[0:1], 0x0
	s_lshl_b32 s10, s15, 2
	s_mov_b32 s1, 0
	s_delay_alu instid0(SALU_CYCLE_1)
	s_mov_b32 s2, s1
	s_mov_b32 s3, s1
	s_waitcnt lgkmcnt(0)
	s_sub_i32 s8, s6, s10
	s_mul_i32 s0, s10, s7
	s_lshl_b32 s11, s8, 8
	s_lshl_b64 s[8:9], s[0:1], 1
	s_mov_b32 s0, s1
	v_lshlrev_b32_e32 v4, 5, v0
	s_add_u32 s4, s4, s8
	v_dual_mov_b32 v0, s0 :: v_dual_mov_b32 v3, s3
	v_dual_mov_b32 v1, s1 :: v_dual_mov_b32 v2, s2
	s_addc_u32 s0, s5, s9
	s_cmp_lt_u32 s6, s10
	s_mov_b32 s7, -1
	s_cselect_b32 s6, s11, 0x400
	s_and_b32 s5, s0, 0xffff
	s_clause 0x1
	buffer_store_b128 v[0:3], v4, s[4:7], 0 offen
	buffer_store_b128 v[0:3], v4, s[4:7], 16 offen
	s_nop 0
	s_sendmsg sendmsg(MSG_DEALLOC_VGPRS)
	s_endpgm
	.section	.rodata,"a",@progbits
	.p2align	6, 0x0
	.amdhsa_kernel _ZN5aiter50hadamard_rotate_activation_fp4quant_inplace_kernelIDF16_Li128ELb1ELi16EEEvPT_PKS1_iii
		.amdhsa_group_segment_fixed_size 0
		.amdhsa_private_segment_fixed_size 0
		.amdhsa_kernarg_size 28
		.amdhsa_user_sgpr_count 15
		.amdhsa_user_sgpr_dispatch_ptr 0
		.amdhsa_user_sgpr_queue_ptr 0
		.amdhsa_user_sgpr_kernarg_segment_ptr 1
		.amdhsa_user_sgpr_dispatch_id 0
		.amdhsa_user_sgpr_private_segment_size 0
		.amdhsa_wavefront_size32 1
		.amdhsa_uses_dynamic_stack 0
		.amdhsa_enable_private_segment 0
		.amdhsa_system_sgpr_workgroup_id_x 1
		.amdhsa_system_sgpr_workgroup_id_y 0
		.amdhsa_system_sgpr_workgroup_id_z 0
		.amdhsa_system_sgpr_workgroup_info 0
		.amdhsa_system_vgpr_workitem_id 0
		.amdhsa_next_free_vgpr 5
		.amdhsa_next_free_sgpr 16
		.amdhsa_reserve_vcc 0
		.amdhsa_float_round_mode_32 0
		.amdhsa_float_round_mode_16_64 0
		.amdhsa_float_denorm_mode_32 3
		.amdhsa_float_denorm_mode_16_64 3
		.amdhsa_dx10_clamp 1
		.amdhsa_ieee_mode 1
		.amdhsa_fp16_overflow 0
		.amdhsa_workgroup_processor_mode 1
		.amdhsa_memory_ordered 1
		.amdhsa_forward_progress 0
		.amdhsa_shared_vgpr_count 0
		.amdhsa_exception_fp_ieee_invalid_op 0
		.amdhsa_exception_fp_denorm_src 0
		.amdhsa_exception_fp_ieee_div_zero 0
		.amdhsa_exception_fp_ieee_overflow 0
		.amdhsa_exception_fp_ieee_underflow 0
		.amdhsa_exception_fp_ieee_inexact 0
		.amdhsa_exception_int_div_zero 0
	.end_amdhsa_kernel
	.section	.text._ZN5aiter50hadamard_rotate_activation_fp4quant_inplace_kernelIDF16_Li128ELb1ELi16EEEvPT_PKS1_iii,"axG",@progbits,_ZN5aiter50hadamard_rotate_activation_fp4quant_inplace_kernelIDF16_Li128ELb1ELi16EEEvPT_PKS1_iii,comdat
.Lfunc_end1:
	.size	_ZN5aiter50hadamard_rotate_activation_fp4quant_inplace_kernelIDF16_Li128ELb1ELi16EEEvPT_PKS1_iii, .Lfunc_end1-_ZN5aiter50hadamard_rotate_activation_fp4quant_inplace_kernelIDF16_Li128ELb1ELi16EEEvPT_PKS1_iii
                                        ; -- End function
	.section	.AMDGPU.csdata,"",@progbits
; Kernel info:
; codeLenInByte = 148
; NumSgprs: 16
; NumVgprs: 5
; ScratchSize: 0
; MemoryBound: 0
; FloatMode: 240
; IeeeMode: 1
; LDSByteSize: 0 bytes/workgroup (compile time only)
; SGPRBlocks: 1
; VGPRBlocks: 0
; NumSGPRsForWavesPerEU: 16
; NumVGPRsForWavesPerEU: 5
; Occupancy: 16
; WaveLimiterHint : 0
; COMPUTE_PGM_RSRC2:SCRATCH_EN: 0
; COMPUTE_PGM_RSRC2:USER_SGPR: 15
; COMPUTE_PGM_RSRC2:TRAP_HANDLER: 0
; COMPUTE_PGM_RSRC2:TGID_X_EN: 1
; COMPUTE_PGM_RSRC2:TGID_Y_EN: 0
; COMPUTE_PGM_RSRC2:TGID_Z_EN: 0
; COMPUTE_PGM_RSRC2:TIDIG_COMP_CNT: 0
	.section	.text._ZN5aiter50hadamard_rotate_activation_fp4quant_inplace_kernelItLi128ELb1ELi16EEEvPT_PKS1_iii,"axG",@progbits,_ZN5aiter50hadamard_rotate_activation_fp4quant_inplace_kernelItLi128ELb1ELi16EEEvPT_PKS1_iii,comdat
	.protected	_ZN5aiter50hadamard_rotate_activation_fp4quant_inplace_kernelItLi128ELb1ELi16EEEvPT_PKS1_iii ; -- Begin function _ZN5aiter50hadamard_rotate_activation_fp4quant_inplace_kernelItLi128ELb1ELi16EEEvPT_PKS1_iii
	.globl	_ZN5aiter50hadamard_rotate_activation_fp4quant_inplace_kernelItLi128ELb1ELi16EEEvPT_PKS1_iii
	.p2align	8
	.type	_ZN5aiter50hadamard_rotate_activation_fp4quant_inplace_kernelItLi128ELb1ELi16EEEvPT_PKS1_iii,@function
_ZN5aiter50hadamard_rotate_activation_fp4quant_inplace_kernelItLi128ELb1ELi16EEEvPT_PKS1_iii: ; @_ZN5aiter50hadamard_rotate_activation_fp4quant_inplace_kernelItLi128ELb1ELi16EEEvPT_PKS1_iii
; %bb.0:
	s_clause 0x1
	s_load_b64 s[6:7], s[0:1], 0x10
	s_load_b64 s[4:5], s[0:1], 0x0
	s_lshl_b32 s10, s15, 2
	s_mov_b32 s1, 0
	s_delay_alu instid0(SALU_CYCLE_1)
	s_mov_b32 s2, s1
	s_mov_b32 s3, s1
	s_waitcnt lgkmcnt(0)
	s_sub_i32 s8, s6, s10
	s_mul_i32 s0, s10, s7
	s_lshl_b32 s11, s8, 8
	s_lshl_b64 s[8:9], s[0:1], 1
	s_mov_b32 s0, s1
	v_lshlrev_b32_e32 v4, 5, v0
	s_add_u32 s4, s4, s8
	v_dual_mov_b32 v0, s0 :: v_dual_mov_b32 v3, s3
	v_dual_mov_b32 v1, s1 :: v_dual_mov_b32 v2, s2
	s_addc_u32 s0, s5, s9
	s_cmp_lt_u32 s6, s10
	s_mov_b32 s7, -1
	s_cselect_b32 s6, s11, 0x400
	s_and_b32 s5, s0, 0xffff
	s_clause 0x1
	buffer_store_b128 v[0:3], v4, s[4:7], 0 offen
	buffer_store_b128 v[0:3], v4, s[4:7], 16 offen
	s_nop 0
	s_sendmsg sendmsg(MSG_DEALLOC_VGPRS)
	s_endpgm
	.section	.rodata,"a",@progbits
	.p2align	6, 0x0
	.amdhsa_kernel _ZN5aiter50hadamard_rotate_activation_fp4quant_inplace_kernelItLi128ELb1ELi16EEEvPT_PKS1_iii
		.amdhsa_group_segment_fixed_size 0
		.amdhsa_private_segment_fixed_size 0
		.amdhsa_kernarg_size 28
		.amdhsa_user_sgpr_count 15
		.amdhsa_user_sgpr_dispatch_ptr 0
		.amdhsa_user_sgpr_queue_ptr 0
		.amdhsa_user_sgpr_kernarg_segment_ptr 1
		.amdhsa_user_sgpr_dispatch_id 0
		.amdhsa_user_sgpr_private_segment_size 0
		.amdhsa_wavefront_size32 1
		.amdhsa_uses_dynamic_stack 0
		.amdhsa_enable_private_segment 0
		.amdhsa_system_sgpr_workgroup_id_x 1
		.amdhsa_system_sgpr_workgroup_id_y 0
		.amdhsa_system_sgpr_workgroup_id_z 0
		.amdhsa_system_sgpr_workgroup_info 0
		.amdhsa_system_vgpr_workitem_id 0
		.amdhsa_next_free_vgpr 5
		.amdhsa_next_free_sgpr 16
		.amdhsa_reserve_vcc 0
		.amdhsa_float_round_mode_32 0
		.amdhsa_float_round_mode_16_64 0
		.amdhsa_float_denorm_mode_32 3
		.amdhsa_float_denorm_mode_16_64 3
		.amdhsa_dx10_clamp 1
		.amdhsa_ieee_mode 1
		.amdhsa_fp16_overflow 0
		.amdhsa_workgroup_processor_mode 1
		.amdhsa_memory_ordered 1
		.amdhsa_forward_progress 0
		.amdhsa_shared_vgpr_count 0
		.amdhsa_exception_fp_ieee_invalid_op 0
		.amdhsa_exception_fp_denorm_src 0
		.amdhsa_exception_fp_ieee_div_zero 0
		.amdhsa_exception_fp_ieee_overflow 0
		.amdhsa_exception_fp_ieee_underflow 0
		.amdhsa_exception_fp_ieee_inexact 0
		.amdhsa_exception_int_div_zero 0
	.end_amdhsa_kernel
	.section	.text._ZN5aiter50hadamard_rotate_activation_fp4quant_inplace_kernelItLi128ELb1ELi16EEEvPT_PKS1_iii,"axG",@progbits,_ZN5aiter50hadamard_rotate_activation_fp4quant_inplace_kernelItLi128ELb1ELi16EEEvPT_PKS1_iii,comdat
.Lfunc_end2:
	.size	_ZN5aiter50hadamard_rotate_activation_fp4quant_inplace_kernelItLi128ELb1ELi16EEEvPT_PKS1_iii, .Lfunc_end2-_ZN5aiter50hadamard_rotate_activation_fp4quant_inplace_kernelItLi128ELb1ELi16EEEvPT_PKS1_iii
                                        ; -- End function
	.section	.AMDGPU.csdata,"",@progbits
; Kernel info:
; codeLenInByte = 148
; NumSgprs: 16
; NumVgprs: 5
; ScratchSize: 0
; MemoryBound: 0
; FloatMode: 240
; IeeeMode: 1
; LDSByteSize: 0 bytes/workgroup (compile time only)
; SGPRBlocks: 1
; VGPRBlocks: 0
; NumSGPRsForWavesPerEU: 16
; NumVGPRsForWavesPerEU: 5
; Occupancy: 16
; WaveLimiterHint : 0
; COMPUTE_PGM_RSRC2:SCRATCH_EN: 0
; COMPUTE_PGM_RSRC2:USER_SGPR: 15
; COMPUTE_PGM_RSRC2:TRAP_HANDLER: 0
; COMPUTE_PGM_RSRC2:TGID_X_EN: 1
; COMPUTE_PGM_RSRC2:TGID_Y_EN: 0
; COMPUTE_PGM_RSRC2:TGID_Z_EN: 0
; COMPUTE_PGM_RSRC2:TIDIG_COMP_CNT: 0
	.section	.text._ZN5aiter50hadamard_rotate_activation_fp4quant_inplace_kernelIDF16_Li256ELb1ELi16EEEvPT_PKS1_iii,"axG",@progbits,_ZN5aiter50hadamard_rotate_activation_fp4quant_inplace_kernelIDF16_Li256ELb1ELi16EEEvPT_PKS1_iii,comdat
	.protected	_ZN5aiter50hadamard_rotate_activation_fp4quant_inplace_kernelIDF16_Li256ELb1ELi16EEEvPT_PKS1_iii ; -- Begin function _ZN5aiter50hadamard_rotate_activation_fp4quant_inplace_kernelIDF16_Li256ELb1ELi16EEEvPT_PKS1_iii
	.globl	_ZN5aiter50hadamard_rotate_activation_fp4quant_inplace_kernelIDF16_Li256ELb1ELi16EEEvPT_PKS1_iii
	.p2align	8
	.type	_ZN5aiter50hadamard_rotate_activation_fp4quant_inplace_kernelIDF16_Li256ELb1ELi16EEEvPT_PKS1_iii,@function
_ZN5aiter50hadamard_rotate_activation_fp4quant_inplace_kernelIDF16_Li256ELb1ELi16EEEvPT_PKS1_iii: ; @_ZN5aiter50hadamard_rotate_activation_fp4quant_inplace_kernelIDF16_Li256ELb1ELi16EEEvPT_PKS1_iii
; %bb.0:
	s_clause 0x1
	s_load_b64 s[6:7], s[0:1], 0x10
	s_load_b64 s[4:5], s[0:1], 0x0
	s_lshl_b32 s10, s15, 1
	s_mov_b32 s1, 0
	s_delay_alu instid0(SALU_CYCLE_1)
	s_mov_b32 s2, s1
	s_mov_b32 s3, s1
	s_waitcnt lgkmcnt(0)
	s_sub_i32 s8, s6, s10
	s_mul_i32 s0, s10, s7
	s_lshl_b32 s11, s8, 9
	s_lshl_b64 s[8:9], s[0:1], 1
	s_mov_b32 s0, s1
	v_lshlrev_b32_e32 v4, 5, v0
	s_add_u32 s4, s4, s8
	v_dual_mov_b32 v0, s0 :: v_dual_mov_b32 v3, s3
	v_dual_mov_b32 v1, s1 :: v_dual_mov_b32 v2, s2
	s_addc_u32 s0, s5, s9
	s_cmp_lt_u32 s6, s10
	s_mov_b32 s7, -1
	s_cselect_b32 s6, s11, 0x400
	s_and_b32 s5, s0, 0xffff
	s_clause 0x1
	buffer_store_b128 v[0:3], v4, s[4:7], 0 offen
	buffer_store_b128 v[0:3], v4, s[4:7], 16 offen
	s_nop 0
	s_sendmsg sendmsg(MSG_DEALLOC_VGPRS)
	s_endpgm
	.section	.rodata,"a",@progbits
	.p2align	6, 0x0
	.amdhsa_kernel _ZN5aiter50hadamard_rotate_activation_fp4quant_inplace_kernelIDF16_Li256ELb1ELi16EEEvPT_PKS1_iii
		.amdhsa_group_segment_fixed_size 0
		.amdhsa_private_segment_fixed_size 0
		.amdhsa_kernarg_size 28
		.amdhsa_user_sgpr_count 15
		.amdhsa_user_sgpr_dispatch_ptr 0
		.amdhsa_user_sgpr_queue_ptr 0
		.amdhsa_user_sgpr_kernarg_segment_ptr 1
		.amdhsa_user_sgpr_dispatch_id 0
		.amdhsa_user_sgpr_private_segment_size 0
		.amdhsa_wavefront_size32 1
		.amdhsa_uses_dynamic_stack 0
		.amdhsa_enable_private_segment 0
		.amdhsa_system_sgpr_workgroup_id_x 1
		.amdhsa_system_sgpr_workgroup_id_y 0
		.amdhsa_system_sgpr_workgroup_id_z 0
		.amdhsa_system_sgpr_workgroup_info 0
		.amdhsa_system_vgpr_workitem_id 0
		.amdhsa_next_free_vgpr 5
		.amdhsa_next_free_sgpr 16
		.amdhsa_reserve_vcc 0
		.amdhsa_float_round_mode_32 0
		.amdhsa_float_round_mode_16_64 0
		.amdhsa_float_denorm_mode_32 3
		.amdhsa_float_denorm_mode_16_64 3
		.amdhsa_dx10_clamp 1
		.amdhsa_ieee_mode 1
		.amdhsa_fp16_overflow 0
		.amdhsa_workgroup_processor_mode 1
		.amdhsa_memory_ordered 1
		.amdhsa_forward_progress 0
		.amdhsa_shared_vgpr_count 0
		.amdhsa_exception_fp_ieee_invalid_op 0
		.amdhsa_exception_fp_denorm_src 0
		.amdhsa_exception_fp_ieee_div_zero 0
		.amdhsa_exception_fp_ieee_overflow 0
		.amdhsa_exception_fp_ieee_underflow 0
		.amdhsa_exception_fp_ieee_inexact 0
		.amdhsa_exception_int_div_zero 0
	.end_amdhsa_kernel
	.section	.text._ZN5aiter50hadamard_rotate_activation_fp4quant_inplace_kernelIDF16_Li256ELb1ELi16EEEvPT_PKS1_iii,"axG",@progbits,_ZN5aiter50hadamard_rotate_activation_fp4quant_inplace_kernelIDF16_Li256ELb1ELi16EEEvPT_PKS1_iii,comdat
.Lfunc_end3:
	.size	_ZN5aiter50hadamard_rotate_activation_fp4quant_inplace_kernelIDF16_Li256ELb1ELi16EEEvPT_PKS1_iii, .Lfunc_end3-_ZN5aiter50hadamard_rotate_activation_fp4quant_inplace_kernelIDF16_Li256ELb1ELi16EEEvPT_PKS1_iii
                                        ; -- End function
	.section	.AMDGPU.csdata,"",@progbits
; Kernel info:
; codeLenInByte = 148
; NumSgprs: 16
; NumVgprs: 5
; ScratchSize: 0
; MemoryBound: 0
; FloatMode: 240
; IeeeMode: 1
; LDSByteSize: 0 bytes/workgroup (compile time only)
; SGPRBlocks: 1
; VGPRBlocks: 0
; NumSGPRsForWavesPerEU: 16
; NumVGPRsForWavesPerEU: 5
; Occupancy: 16
; WaveLimiterHint : 0
; COMPUTE_PGM_RSRC2:SCRATCH_EN: 0
; COMPUTE_PGM_RSRC2:USER_SGPR: 15
; COMPUTE_PGM_RSRC2:TRAP_HANDLER: 0
; COMPUTE_PGM_RSRC2:TGID_X_EN: 1
; COMPUTE_PGM_RSRC2:TGID_Y_EN: 0
; COMPUTE_PGM_RSRC2:TGID_Z_EN: 0
; COMPUTE_PGM_RSRC2:TIDIG_COMP_CNT: 0
	.section	.text._ZN5aiter50hadamard_rotate_activation_fp4quant_inplace_kernelItLi256ELb1ELi16EEEvPT_PKS1_iii,"axG",@progbits,_ZN5aiter50hadamard_rotate_activation_fp4quant_inplace_kernelItLi256ELb1ELi16EEEvPT_PKS1_iii,comdat
	.protected	_ZN5aiter50hadamard_rotate_activation_fp4quant_inplace_kernelItLi256ELb1ELi16EEEvPT_PKS1_iii ; -- Begin function _ZN5aiter50hadamard_rotate_activation_fp4quant_inplace_kernelItLi256ELb1ELi16EEEvPT_PKS1_iii
	.globl	_ZN5aiter50hadamard_rotate_activation_fp4quant_inplace_kernelItLi256ELb1ELi16EEEvPT_PKS1_iii
	.p2align	8
	.type	_ZN5aiter50hadamard_rotate_activation_fp4quant_inplace_kernelItLi256ELb1ELi16EEEvPT_PKS1_iii,@function
_ZN5aiter50hadamard_rotate_activation_fp4quant_inplace_kernelItLi256ELb1ELi16EEEvPT_PKS1_iii: ; @_ZN5aiter50hadamard_rotate_activation_fp4quant_inplace_kernelItLi256ELb1ELi16EEEvPT_PKS1_iii
; %bb.0:
	s_clause 0x1
	s_load_b64 s[6:7], s[0:1], 0x10
	s_load_b64 s[4:5], s[0:1], 0x0
	s_lshl_b32 s10, s15, 1
	s_mov_b32 s1, 0
	s_delay_alu instid0(SALU_CYCLE_1)
	s_mov_b32 s2, s1
	s_mov_b32 s3, s1
	s_waitcnt lgkmcnt(0)
	s_sub_i32 s8, s6, s10
	s_mul_i32 s0, s10, s7
	s_lshl_b32 s11, s8, 9
	s_lshl_b64 s[8:9], s[0:1], 1
	s_mov_b32 s0, s1
	v_lshlrev_b32_e32 v4, 5, v0
	s_add_u32 s4, s4, s8
	v_dual_mov_b32 v0, s0 :: v_dual_mov_b32 v3, s3
	v_dual_mov_b32 v1, s1 :: v_dual_mov_b32 v2, s2
	s_addc_u32 s0, s5, s9
	s_cmp_lt_u32 s6, s10
	s_mov_b32 s7, -1
	s_cselect_b32 s6, s11, 0x400
	s_and_b32 s5, s0, 0xffff
	s_clause 0x1
	buffer_store_b128 v[0:3], v4, s[4:7], 0 offen
	buffer_store_b128 v[0:3], v4, s[4:7], 16 offen
	s_nop 0
	s_sendmsg sendmsg(MSG_DEALLOC_VGPRS)
	s_endpgm
	.section	.rodata,"a",@progbits
	.p2align	6, 0x0
	.amdhsa_kernel _ZN5aiter50hadamard_rotate_activation_fp4quant_inplace_kernelItLi256ELb1ELi16EEEvPT_PKS1_iii
		.amdhsa_group_segment_fixed_size 0
		.amdhsa_private_segment_fixed_size 0
		.amdhsa_kernarg_size 28
		.amdhsa_user_sgpr_count 15
		.amdhsa_user_sgpr_dispatch_ptr 0
		.amdhsa_user_sgpr_queue_ptr 0
		.amdhsa_user_sgpr_kernarg_segment_ptr 1
		.amdhsa_user_sgpr_dispatch_id 0
		.amdhsa_user_sgpr_private_segment_size 0
		.amdhsa_wavefront_size32 1
		.amdhsa_uses_dynamic_stack 0
		.amdhsa_enable_private_segment 0
		.amdhsa_system_sgpr_workgroup_id_x 1
		.amdhsa_system_sgpr_workgroup_id_y 0
		.amdhsa_system_sgpr_workgroup_id_z 0
		.amdhsa_system_sgpr_workgroup_info 0
		.amdhsa_system_vgpr_workitem_id 0
		.amdhsa_next_free_vgpr 5
		.amdhsa_next_free_sgpr 16
		.amdhsa_reserve_vcc 0
		.amdhsa_float_round_mode_32 0
		.amdhsa_float_round_mode_16_64 0
		.amdhsa_float_denorm_mode_32 3
		.amdhsa_float_denorm_mode_16_64 3
		.amdhsa_dx10_clamp 1
		.amdhsa_ieee_mode 1
		.amdhsa_fp16_overflow 0
		.amdhsa_workgroup_processor_mode 1
		.amdhsa_memory_ordered 1
		.amdhsa_forward_progress 0
		.amdhsa_shared_vgpr_count 0
		.amdhsa_exception_fp_ieee_invalid_op 0
		.amdhsa_exception_fp_denorm_src 0
		.amdhsa_exception_fp_ieee_div_zero 0
		.amdhsa_exception_fp_ieee_overflow 0
		.amdhsa_exception_fp_ieee_underflow 0
		.amdhsa_exception_fp_ieee_inexact 0
		.amdhsa_exception_int_div_zero 0
	.end_amdhsa_kernel
	.section	.text._ZN5aiter50hadamard_rotate_activation_fp4quant_inplace_kernelItLi256ELb1ELi16EEEvPT_PKS1_iii,"axG",@progbits,_ZN5aiter50hadamard_rotate_activation_fp4quant_inplace_kernelItLi256ELb1ELi16EEEvPT_PKS1_iii,comdat
.Lfunc_end4:
	.size	_ZN5aiter50hadamard_rotate_activation_fp4quant_inplace_kernelItLi256ELb1ELi16EEEvPT_PKS1_iii, .Lfunc_end4-_ZN5aiter50hadamard_rotate_activation_fp4quant_inplace_kernelItLi256ELb1ELi16EEEvPT_PKS1_iii
                                        ; -- End function
	.section	.AMDGPU.csdata,"",@progbits
; Kernel info:
; codeLenInByte = 148
; NumSgprs: 16
; NumVgprs: 5
; ScratchSize: 0
; MemoryBound: 0
; FloatMode: 240
; IeeeMode: 1
; LDSByteSize: 0 bytes/workgroup (compile time only)
; SGPRBlocks: 1
; VGPRBlocks: 0
; NumSGPRsForWavesPerEU: 16
; NumVGPRsForWavesPerEU: 5
; Occupancy: 16
; WaveLimiterHint : 0
; COMPUTE_PGM_RSRC2:SCRATCH_EN: 0
; COMPUTE_PGM_RSRC2:USER_SGPR: 15
; COMPUTE_PGM_RSRC2:TRAP_HANDLER: 0
; COMPUTE_PGM_RSRC2:TGID_X_EN: 1
; COMPUTE_PGM_RSRC2:TGID_Y_EN: 0
; COMPUTE_PGM_RSRC2:TGID_Z_EN: 0
; COMPUTE_PGM_RSRC2:TIDIG_COMP_CNT: 0
	.section	.text._ZN5aiter50hadamard_rotate_activation_fp4quant_inplace_kernelIDF16_Li512ELb1ELi16EEEvPT_PKS1_iii,"axG",@progbits,_ZN5aiter50hadamard_rotate_activation_fp4quant_inplace_kernelIDF16_Li512ELb1ELi16EEEvPT_PKS1_iii,comdat
	.protected	_ZN5aiter50hadamard_rotate_activation_fp4quant_inplace_kernelIDF16_Li512ELb1ELi16EEEvPT_PKS1_iii ; -- Begin function _ZN5aiter50hadamard_rotate_activation_fp4quant_inplace_kernelIDF16_Li512ELb1ELi16EEEvPT_PKS1_iii
	.globl	_ZN5aiter50hadamard_rotate_activation_fp4quant_inplace_kernelIDF16_Li512ELb1ELi16EEEvPT_PKS1_iii
	.p2align	8
	.type	_ZN5aiter50hadamard_rotate_activation_fp4quant_inplace_kernelIDF16_Li512ELb1ELi16EEEvPT_PKS1_iii,@function
_ZN5aiter50hadamard_rotate_activation_fp4quant_inplace_kernelIDF16_Li512ELb1ELi16EEEvPT_PKS1_iii: ; @_ZN5aiter50hadamard_rotate_activation_fp4quant_inplace_kernelIDF16_Li512ELb1ELi16EEEvPT_PKS1_iii
; %bb.0:
	s_clause 0x1
	s_load_b64 s[6:7], s[0:1], 0x10
	s_load_b64 s[4:5], s[0:1], 0x0
	s_mov_b32 s1, 0
	s_delay_alu instid0(SALU_CYCLE_1)
	s_mov_b32 s2, s1
	s_mov_b32 s3, s1
	s_waitcnt lgkmcnt(0)
	s_sub_i32 s8, s6, s15
	s_mul_i32 s0, s15, s7
	s_lshl_b32 s10, s8, 10
	s_lshl_b64 s[8:9], s[0:1], 1
	s_mov_b32 s0, s1
	v_lshlrev_b32_e32 v4, 5, v0
	s_add_u32 s4, s4, s8
	v_dual_mov_b32 v0, s0 :: v_dual_mov_b32 v3, s3
	v_dual_mov_b32 v1, s1 :: v_dual_mov_b32 v2, s2
	s_addc_u32 s0, s5, s9
	s_cmp_lt_u32 s6, s15
	s_mov_b32 s7, -1
	s_cselect_b32 s6, s10, 0x400
	s_and_b32 s5, s0, 0xffff
	s_clause 0x1
	buffer_store_b128 v[0:3], v4, s[4:7], 0 offen
	buffer_store_b128 v[0:3], v4, s[4:7], 16 offen
	s_nop 0
	s_sendmsg sendmsg(MSG_DEALLOC_VGPRS)
	s_endpgm
	.section	.rodata,"a",@progbits
	.p2align	6, 0x0
	.amdhsa_kernel _ZN5aiter50hadamard_rotate_activation_fp4quant_inplace_kernelIDF16_Li512ELb1ELi16EEEvPT_PKS1_iii
		.amdhsa_group_segment_fixed_size 0
		.amdhsa_private_segment_fixed_size 0
		.amdhsa_kernarg_size 28
		.amdhsa_user_sgpr_count 15
		.amdhsa_user_sgpr_dispatch_ptr 0
		.amdhsa_user_sgpr_queue_ptr 0
		.amdhsa_user_sgpr_kernarg_segment_ptr 1
		.amdhsa_user_sgpr_dispatch_id 0
		.amdhsa_user_sgpr_private_segment_size 0
		.amdhsa_wavefront_size32 1
		.amdhsa_uses_dynamic_stack 0
		.amdhsa_enable_private_segment 0
		.amdhsa_system_sgpr_workgroup_id_x 1
		.amdhsa_system_sgpr_workgroup_id_y 0
		.amdhsa_system_sgpr_workgroup_id_z 0
		.amdhsa_system_sgpr_workgroup_info 0
		.amdhsa_system_vgpr_workitem_id 0
		.amdhsa_next_free_vgpr 5
		.amdhsa_next_free_sgpr 16
		.amdhsa_reserve_vcc 0
		.amdhsa_float_round_mode_32 0
		.amdhsa_float_round_mode_16_64 0
		.amdhsa_float_denorm_mode_32 3
		.amdhsa_float_denorm_mode_16_64 3
		.amdhsa_dx10_clamp 1
		.amdhsa_ieee_mode 1
		.amdhsa_fp16_overflow 0
		.amdhsa_workgroup_processor_mode 1
		.amdhsa_memory_ordered 1
		.amdhsa_forward_progress 0
		.amdhsa_shared_vgpr_count 0
		.amdhsa_exception_fp_ieee_invalid_op 0
		.amdhsa_exception_fp_denorm_src 0
		.amdhsa_exception_fp_ieee_div_zero 0
		.amdhsa_exception_fp_ieee_overflow 0
		.amdhsa_exception_fp_ieee_underflow 0
		.amdhsa_exception_fp_ieee_inexact 0
		.amdhsa_exception_int_div_zero 0
	.end_amdhsa_kernel
	.section	.text._ZN5aiter50hadamard_rotate_activation_fp4quant_inplace_kernelIDF16_Li512ELb1ELi16EEEvPT_PKS1_iii,"axG",@progbits,_ZN5aiter50hadamard_rotate_activation_fp4quant_inplace_kernelIDF16_Li512ELb1ELi16EEEvPT_PKS1_iii,comdat
.Lfunc_end5:
	.size	_ZN5aiter50hadamard_rotate_activation_fp4quant_inplace_kernelIDF16_Li512ELb1ELi16EEEvPT_PKS1_iii, .Lfunc_end5-_ZN5aiter50hadamard_rotate_activation_fp4quant_inplace_kernelIDF16_Li512ELb1ELi16EEEvPT_PKS1_iii
                                        ; -- End function
	.section	.AMDGPU.csdata,"",@progbits
; Kernel info:
; codeLenInByte = 144
; NumSgprs: 16
; NumVgprs: 5
; ScratchSize: 0
; MemoryBound: 0
; FloatMode: 240
; IeeeMode: 1
; LDSByteSize: 0 bytes/workgroup (compile time only)
; SGPRBlocks: 1
; VGPRBlocks: 0
; NumSGPRsForWavesPerEU: 16
; NumVGPRsForWavesPerEU: 5
; Occupancy: 16
; WaveLimiterHint : 0
; COMPUTE_PGM_RSRC2:SCRATCH_EN: 0
; COMPUTE_PGM_RSRC2:USER_SGPR: 15
; COMPUTE_PGM_RSRC2:TRAP_HANDLER: 0
; COMPUTE_PGM_RSRC2:TGID_X_EN: 1
; COMPUTE_PGM_RSRC2:TGID_Y_EN: 0
; COMPUTE_PGM_RSRC2:TGID_Z_EN: 0
; COMPUTE_PGM_RSRC2:TIDIG_COMP_CNT: 0
	.section	.text._ZN5aiter50hadamard_rotate_activation_fp4quant_inplace_kernelItLi512ELb1ELi16EEEvPT_PKS1_iii,"axG",@progbits,_ZN5aiter50hadamard_rotate_activation_fp4quant_inplace_kernelItLi512ELb1ELi16EEEvPT_PKS1_iii,comdat
	.protected	_ZN5aiter50hadamard_rotate_activation_fp4quant_inplace_kernelItLi512ELb1ELi16EEEvPT_PKS1_iii ; -- Begin function _ZN5aiter50hadamard_rotate_activation_fp4quant_inplace_kernelItLi512ELb1ELi16EEEvPT_PKS1_iii
	.globl	_ZN5aiter50hadamard_rotate_activation_fp4quant_inplace_kernelItLi512ELb1ELi16EEEvPT_PKS1_iii
	.p2align	8
	.type	_ZN5aiter50hadamard_rotate_activation_fp4quant_inplace_kernelItLi512ELb1ELi16EEEvPT_PKS1_iii,@function
_ZN5aiter50hadamard_rotate_activation_fp4quant_inplace_kernelItLi512ELb1ELi16EEEvPT_PKS1_iii: ; @_ZN5aiter50hadamard_rotate_activation_fp4quant_inplace_kernelItLi512ELb1ELi16EEEvPT_PKS1_iii
; %bb.0:
	s_clause 0x1
	s_load_b64 s[6:7], s[0:1], 0x10
	s_load_b64 s[4:5], s[0:1], 0x0
	s_mov_b32 s1, 0
	s_delay_alu instid0(SALU_CYCLE_1)
	s_mov_b32 s2, s1
	s_mov_b32 s3, s1
	s_waitcnt lgkmcnt(0)
	s_sub_i32 s8, s6, s15
	s_mul_i32 s0, s15, s7
	s_lshl_b32 s10, s8, 10
	s_lshl_b64 s[8:9], s[0:1], 1
	s_mov_b32 s0, s1
	v_lshlrev_b32_e32 v4, 5, v0
	s_add_u32 s4, s4, s8
	v_dual_mov_b32 v0, s0 :: v_dual_mov_b32 v3, s3
	v_dual_mov_b32 v1, s1 :: v_dual_mov_b32 v2, s2
	s_addc_u32 s0, s5, s9
	s_cmp_lt_u32 s6, s15
	s_mov_b32 s7, -1
	s_cselect_b32 s6, s10, 0x400
	s_and_b32 s5, s0, 0xffff
	s_clause 0x1
	buffer_store_b128 v[0:3], v4, s[4:7], 0 offen
	buffer_store_b128 v[0:3], v4, s[4:7], 16 offen
	s_nop 0
	s_sendmsg sendmsg(MSG_DEALLOC_VGPRS)
	s_endpgm
	.section	.rodata,"a",@progbits
	.p2align	6, 0x0
	.amdhsa_kernel _ZN5aiter50hadamard_rotate_activation_fp4quant_inplace_kernelItLi512ELb1ELi16EEEvPT_PKS1_iii
		.amdhsa_group_segment_fixed_size 0
		.amdhsa_private_segment_fixed_size 0
		.amdhsa_kernarg_size 28
		.amdhsa_user_sgpr_count 15
		.amdhsa_user_sgpr_dispatch_ptr 0
		.amdhsa_user_sgpr_queue_ptr 0
		.amdhsa_user_sgpr_kernarg_segment_ptr 1
		.amdhsa_user_sgpr_dispatch_id 0
		.amdhsa_user_sgpr_private_segment_size 0
		.amdhsa_wavefront_size32 1
		.amdhsa_uses_dynamic_stack 0
		.amdhsa_enable_private_segment 0
		.amdhsa_system_sgpr_workgroup_id_x 1
		.amdhsa_system_sgpr_workgroup_id_y 0
		.amdhsa_system_sgpr_workgroup_id_z 0
		.amdhsa_system_sgpr_workgroup_info 0
		.amdhsa_system_vgpr_workitem_id 0
		.amdhsa_next_free_vgpr 5
		.amdhsa_next_free_sgpr 16
		.amdhsa_reserve_vcc 0
		.amdhsa_float_round_mode_32 0
		.amdhsa_float_round_mode_16_64 0
		.amdhsa_float_denorm_mode_32 3
		.amdhsa_float_denorm_mode_16_64 3
		.amdhsa_dx10_clamp 1
		.amdhsa_ieee_mode 1
		.amdhsa_fp16_overflow 0
		.amdhsa_workgroup_processor_mode 1
		.amdhsa_memory_ordered 1
		.amdhsa_forward_progress 0
		.amdhsa_shared_vgpr_count 0
		.amdhsa_exception_fp_ieee_invalid_op 0
		.amdhsa_exception_fp_denorm_src 0
		.amdhsa_exception_fp_ieee_div_zero 0
		.amdhsa_exception_fp_ieee_overflow 0
		.amdhsa_exception_fp_ieee_underflow 0
		.amdhsa_exception_fp_ieee_inexact 0
		.amdhsa_exception_int_div_zero 0
	.end_amdhsa_kernel
	.section	.text._ZN5aiter50hadamard_rotate_activation_fp4quant_inplace_kernelItLi512ELb1ELi16EEEvPT_PKS1_iii,"axG",@progbits,_ZN5aiter50hadamard_rotate_activation_fp4quant_inplace_kernelItLi512ELb1ELi16EEEvPT_PKS1_iii,comdat
.Lfunc_end6:
	.size	_ZN5aiter50hadamard_rotate_activation_fp4quant_inplace_kernelItLi512ELb1ELi16EEEvPT_PKS1_iii, .Lfunc_end6-_ZN5aiter50hadamard_rotate_activation_fp4quant_inplace_kernelItLi512ELb1ELi16EEEvPT_PKS1_iii
                                        ; -- End function
	.section	.AMDGPU.csdata,"",@progbits
; Kernel info:
; codeLenInByte = 144
; NumSgprs: 16
; NumVgprs: 5
; ScratchSize: 0
; MemoryBound: 0
; FloatMode: 240
; IeeeMode: 1
; LDSByteSize: 0 bytes/workgroup (compile time only)
; SGPRBlocks: 1
; VGPRBlocks: 0
; NumSGPRsForWavesPerEU: 16
; NumVGPRsForWavesPerEU: 5
; Occupancy: 16
; WaveLimiterHint : 0
; COMPUTE_PGM_RSRC2:SCRATCH_EN: 0
; COMPUTE_PGM_RSRC2:USER_SGPR: 15
; COMPUTE_PGM_RSRC2:TRAP_HANDLER: 0
; COMPUTE_PGM_RSRC2:TGID_X_EN: 1
; COMPUTE_PGM_RSRC2:TGID_Y_EN: 0
; COMPUTE_PGM_RSRC2:TGID_Z_EN: 0
; COMPUTE_PGM_RSRC2:TIDIG_COMP_CNT: 0
	.section	.text._ZN5aiter50hadamard_rotate_activation_fp4quant_inplace_kernelIDF16_Li1024ELb1ELi32EEEvPT_PKS1_iii,"axG",@progbits,_ZN5aiter50hadamard_rotate_activation_fp4quant_inplace_kernelIDF16_Li1024ELb1ELi32EEEvPT_PKS1_iii,comdat
	.protected	_ZN5aiter50hadamard_rotate_activation_fp4quant_inplace_kernelIDF16_Li1024ELb1ELi32EEEvPT_PKS1_iii ; -- Begin function _ZN5aiter50hadamard_rotate_activation_fp4quant_inplace_kernelIDF16_Li1024ELb1ELi32EEEvPT_PKS1_iii
	.globl	_ZN5aiter50hadamard_rotate_activation_fp4quant_inplace_kernelIDF16_Li1024ELb1ELi32EEEvPT_PKS1_iii
	.p2align	8
	.type	_ZN5aiter50hadamard_rotate_activation_fp4quant_inplace_kernelIDF16_Li1024ELb1ELi32EEEvPT_PKS1_iii,@function
_ZN5aiter50hadamard_rotate_activation_fp4quant_inplace_kernelIDF16_Li1024ELb1ELi32EEEvPT_PKS1_iii: ; @_ZN5aiter50hadamard_rotate_activation_fp4quant_inplace_kernelIDF16_Li1024ELb1ELi32EEEvPT_PKS1_iii
; %bb.0:
	s_clause 0x1
	s_load_b64 s[6:7], s[0:1], 0x10
	s_load_b64 s[4:5], s[0:1], 0x0
	s_mov_b32 s1, 0
	s_delay_alu instid0(SALU_CYCLE_1)
	s_mov_b32 s2, s1
	s_mov_b32 s3, s1
	s_waitcnt lgkmcnt(0)
	s_sub_i32 s8, s6, s15
	s_mul_i32 s0, s15, s7
	s_lshl_b32 s10, s8, 11
	s_lshl_b64 s[8:9], s[0:1], 1
	s_mov_b32 s0, s1
	v_lshlrev_b32_e32 v4, 6, v0
	s_add_u32 s4, s4, s8
	v_dual_mov_b32 v0, s0 :: v_dual_mov_b32 v3, s3
	v_dual_mov_b32 v1, s1 :: v_dual_mov_b32 v2, s2
	s_addc_u32 s0, s5, s9
	s_cmp_lt_u32 s6, s15
	s_mov_b32 s7, -1
	s_cselect_b32 s6, s10, 0x800
	s_and_b32 s5, s0, 0xffff
	s_clause 0x3
	buffer_store_b128 v[0:3], v4, s[4:7], 0 offen
	buffer_store_b128 v[0:3], v4, s[4:7], 16 offen
	buffer_store_b128 v[0:3], v4, s[4:7], 32 offen
	buffer_store_b128 v[0:3], v4, s[4:7], 48 offen
	s_nop 0
	s_sendmsg sendmsg(MSG_DEALLOC_VGPRS)
	s_endpgm
	.section	.rodata,"a",@progbits
	.p2align	6, 0x0
	.amdhsa_kernel _ZN5aiter50hadamard_rotate_activation_fp4quant_inplace_kernelIDF16_Li1024ELb1ELi32EEEvPT_PKS1_iii
		.amdhsa_group_segment_fixed_size 0
		.amdhsa_private_segment_fixed_size 0
		.amdhsa_kernarg_size 28
		.amdhsa_user_sgpr_count 15
		.amdhsa_user_sgpr_dispatch_ptr 0
		.amdhsa_user_sgpr_queue_ptr 0
		.amdhsa_user_sgpr_kernarg_segment_ptr 1
		.amdhsa_user_sgpr_dispatch_id 0
		.amdhsa_user_sgpr_private_segment_size 0
		.amdhsa_wavefront_size32 1
		.amdhsa_uses_dynamic_stack 0
		.amdhsa_enable_private_segment 0
		.amdhsa_system_sgpr_workgroup_id_x 1
		.amdhsa_system_sgpr_workgroup_id_y 0
		.amdhsa_system_sgpr_workgroup_id_z 0
		.amdhsa_system_sgpr_workgroup_info 0
		.amdhsa_system_vgpr_workitem_id 0
		.amdhsa_next_free_vgpr 5
		.amdhsa_next_free_sgpr 16
		.amdhsa_reserve_vcc 0
		.amdhsa_float_round_mode_32 0
		.amdhsa_float_round_mode_16_64 0
		.amdhsa_float_denorm_mode_32 3
		.amdhsa_float_denorm_mode_16_64 3
		.amdhsa_dx10_clamp 1
		.amdhsa_ieee_mode 1
		.amdhsa_fp16_overflow 0
		.amdhsa_workgroup_processor_mode 1
		.amdhsa_memory_ordered 1
		.amdhsa_forward_progress 0
		.amdhsa_shared_vgpr_count 0
		.amdhsa_exception_fp_ieee_invalid_op 0
		.amdhsa_exception_fp_denorm_src 0
		.amdhsa_exception_fp_ieee_div_zero 0
		.amdhsa_exception_fp_ieee_overflow 0
		.amdhsa_exception_fp_ieee_underflow 0
		.amdhsa_exception_fp_ieee_inexact 0
		.amdhsa_exception_int_div_zero 0
	.end_amdhsa_kernel
	.section	.text._ZN5aiter50hadamard_rotate_activation_fp4quant_inplace_kernelIDF16_Li1024ELb1ELi32EEEvPT_PKS1_iii,"axG",@progbits,_ZN5aiter50hadamard_rotate_activation_fp4quant_inplace_kernelIDF16_Li1024ELb1ELi32EEEvPT_PKS1_iii,comdat
.Lfunc_end7:
	.size	_ZN5aiter50hadamard_rotate_activation_fp4quant_inplace_kernelIDF16_Li1024ELb1ELi32EEEvPT_PKS1_iii, .Lfunc_end7-_ZN5aiter50hadamard_rotate_activation_fp4quant_inplace_kernelIDF16_Li1024ELb1ELi32EEEvPT_PKS1_iii
                                        ; -- End function
	.section	.AMDGPU.csdata,"",@progbits
; Kernel info:
; codeLenInByte = 160
; NumSgprs: 16
; NumVgprs: 5
; ScratchSize: 0
; MemoryBound: 0
; FloatMode: 240
; IeeeMode: 1
; LDSByteSize: 0 bytes/workgroup (compile time only)
; SGPRBlocks: 1
; VGPRBlocks: 0
; NumSGPRsForWavesPerEU: 16
; NumVGPRsForWavesPerEU: 5
; Occupancy: 16
; WaveLimiterHint : 0
; COMPUTE_PGM_RSRC2:SCRATCH_EN: 0
; COMPUTE_PGM_RSRC2:USER_SGPR: 15
; COMPUTE_PGM_RSRC2:TRAP_HANDLER: 0
; COMPUTE_PGM_RSRC2:TGID_X_EN: 1
; COMPUTE_PGM_RSRC2:TGID_Y_EN: 0
; COMPUTE_PGM_RSRC2:TGID_Z_EN: 0
; COMPUTE_PGM_RSRC2:TIDIG_COMP_CNT: 0
	.section	.text._ZN5aiter50hadamard_rotate_activation_fp4quant_inplace_kernelItLi1024ELb1ELi32EEEvPT_PKS1_iii,"axG",@progbits,_ZN5aiter50hadamard_rotate_activation_fp4quant_inplace_kernelItLi1024ELb1ELi32EEEvPT_PKS1_iii,comdat
	.protected	_ZN5aiter50hadamard_rotate_activation_fp4quant_inplace_kernelItLi1024ELb1ELi32EEEvPT_PKS1_iii ; -- Begin function _ZN5aiter50hadamard_rotate_activation_fp4quant_inplace_kernelItLi1024ELb1ELi32EEEvPT_PKS1_iii
	.globl	_ZN5aiter50hadamard_rotate_activation_fp4quant_inplace_kernelItLi1024ELb1ELi32EEEvPT_PKS1_iii
	.p2align	8
	.type	_ZN5aiter50hadamard_rotate_activation_fp4quant_inplace_kernelItLi1024ELb1ELi32EEEvPT_PKS1_iii,@function
_ZN5aiter50hadamard_rotate_activation_fp4quant_inplace_kernelItLi1024ELb1ELi32EEEvPT_PKS1_iii: ; @_ZN5aiter50hadamard_rotate_activation_fp4quant_inplace_kernelItLi1024ELb1ELi32EEEvPT_PKS1_iii
; %bb.0:
	s_clause 0x1
	s_load_b64 s[6:7], s[0:1], 0x10
	s_load_b64 s[4:5], s[0:1], 0x0
	s_mov_b32 s1, 0
	s_delay_alu instid0(SALU_CYCLE_1)
	s_mov_b32 s2, s1
	s_mov_b32 s3, s1
	s_waitcnt lgkmcnt(0)
	s_sub_i32 s8, s6, s15
	s_mul_i32 s0, s15, s7
	s_lshl_b32 s10, s8, 11
	s_lshl_b64 s[8:9], s[0:1], 1
	s_mov_b32 s0, s1
	v_lshlrev_b32_e32 v4, 6, v0
	s_add_u32 s4, s4, s8
	v_dual_mov_b32 v0, s0 :: v_dual_mov_b32 v3, s3
	v_dual_mov_b32 v1, s1 :: v_dual_mov_b32 v2, s2
	s_addc_u32 s0, s5, s9
	s_cmp_lt_u32 s6, s15
	s_mov_b32 s7, -1
	s_cselect_b32 s6, s10, 0x800
	s_and_b32 s5, s0, 0xffff
	s_clause 0x3
	buffer_store_b128 v[0:3], v4, s[4:7], 0 offen
	buffer_store_b128 v[0:3], v4, s[4:7], 16 offen
	buffer_store_b128 v[0:3], v4, s[4:7], 32 offen
	buffer_store_b128 v[0:3], v4, s[4:7], 48 offen
	s_nop 0
	s_sendmsg sendmsg(MSG_DEALLOC_VGPRS)
	s_endpgm
	.section	.rodata,"a",@progbits
	.p2align	6, 0x0
	.amdhsa_kernel _ZN5aiter50hadamard_rotate_activation_fp4quant_inplace_kernelItLi1024ELb1ELi32EEEvPT_PKS1_iii
		.amdhsa_group_segment_fixed_size 0
		.amdhsa_private_segment_fixed_size 0
		.amdhsa_kernarg_size 28
		.amdhsa_user_sgpr_count 15
		.amdhsa_user_sgpr_dispatch_ptr 0
		.amdhsa_user_sgpr_queue_ptr 0
		.amdhsa_user_sgpr_kernarg_segment_ptr 1
		.amdhsa_user_sgpr_dispatch_id 0
		.amdhsa_user_sgpr_private_segment_size 0
		.amdhsa_wavefront_size32 1
		.amdhsa_uses_dynamic_stack 0
		.amdhsa_enable_private_segment 0
		.amdhsa_system_sgpr_workgroup_id_x 1
		.amdhsa_system_sgpr_workgroup_id_y 0
		.amdhsa_system_sgpr_workgroup_id_z 0
		.amdhsa_system_sgpr_workgroup_info 0
		.amdhsa_system_vgpr_workitem_id 0
		.amdhsa_next_free_vgpr 5
		.amdhsa_next_free_sgpr 16
		.amdhsa_reserve_vcc 0
		.amdhsa_float_round_mode_32 0
		.amdhsa_float_round_mode_16_64 0
		.amdhsa_float_denorm_mode_32 3
		.amdhsa_float_denorm_mode_16_64 3
		.amdhsa_dx10_clamp 1
		.amdhsa_ieee_mode 1
		.amdhsa_fp16_overflow 0
		.amdhsa_workgroup_processor_mode 1
		.amdhsa_memory_ordered 1
		.amdhsa_forward_progress 0
		.amdhsa_shared_vgpr_count 0
		.amdhsa_exception_fp_ieee_invalid_op 0
		.amdhsa_exception_fp_denorm_src 0
		.amdhsa_exception_fp_ieee_div_zero 0
		.amdhsa_exception_fp_ieee_overflow 0
		.amdhsa_exception_fp_ieee_underflow 0
		.amdhsa_exception_fp_ieee_inexact 0
		.amdhsa_exception_int_div_zero 0
	.end_amdhsa_kernel
	.section	.text._ZN5aiter50hadamard_rotate_activation_fp4quant_inplace_kernelItLi1024ELb1ELi32EEEvPT_PKS1_iii,"axG",@progbits,_ZN5aiter50hadamard_rotate_activation_fp4quant_inplace_kernelItLi1024ELb1ELi32EEEvPT_PKS1_iii,comdat
.Lfunc_end8:
	.size	_ZN5aiter50hadamard_rotate_activation_fp4quant_inplace_kernelItLi1024ELb1ELi32EEEvPT_PKS1_iii, .Lfunc_end8-_ZN5aiter50hadamard_rotate_activation_fp4quant_inplace_kernelItLi1024ELb1ELi32EEEvPT_PKS1_iii
                                        ; -- End function
	.section	.AMDGPU.csdata,"",@progbits
; Kernel info:
; codeLenInByte = 160
; NumSgprs: 16
; NumVgprs: 5
; ScratchSize: 0
; MemoryBound: 0
; FloatMode: 240
; IeeeMode: 1
; LDSByteSize: 0 bytes/workgroup (compile time only)
; SGPRBlocks: 1
; VGPRBlocks: 0
; NumSGPRsForWavesPerEU: 16
; NumVGPRsForWavesPerEU: 5
; Occupancy: 16
; WaveLimiterHint : 0
; COMPUTE_PGM_RSRC2:SCRATCH_EN: 0
; COMPUTE_PGM_RSRC2:USER_SGPR: 15
; COMPUTE_PGM_RSRC2:TRAP_HANDLER: 0
; COMPUTE_PGM_RSRC2:TGID_X_EN: 1
; COMPUTE_PGM_RSRC2:TGID_Y_EN: 0
; COMPUTE_PGM_RSRC2:TGID_Z_EN: 0
; COMPUTE_PGM_RSRC2:TIDIG_COMP_CNT: 0
	.section	.text._ZN5aiter50hadamard_rotate_activation_fp4quant_inplace_kernelIDF16_Li128ELb0ELi16EEEvPT_PKS1_iii,"axG",@progbits,_ZN5aiter50hadamard_rotate_activation_fp4quant_inplace_kernelIDF16_Li128ELb0ELi16EEEvPT_PKS1_iii,comdat
	.protected	_ZN5aiter50hadamard_rotate_activation_fp4quant_inplace_kernelIDF16_Li128ELb0ELi16EEEvPT_PKS1_iii ; -- Begin function _ZN5aiter50hadamard_rotate_activation_fp4quant_inplace_kernelIDF16_Li128ELb0ELi16EEEvPT_PKS1_iii
	.globl	_ZN5aiter50hadamard_rotate_activation_fp4quant_inplace_kernelIDF16_Li128ELb0ELi16EEEvPT_PKS1_iii
	.p2align	8
	.type	_ZN5aiter50hadamard_rotate_activation_fp4quant_inplace_kernelIDF16_Li128ELb0ELi16EEEvPT_PKS1_iii,@function
_ZN5aiter50hadamard_rotate_activation_fp4quant_inplace_kernelIDF16_Li128ELb0ELi16EEEvPT_PKS1_iii: ; @_ZN5aiter50hadamard_rotate_activation_fp4quant_inplace_kernelIDF16_Li128ELb0ELi16EEEvPT_PKS1_iii
; %bb.0:
	s_clause 0x1
	s_load_b64 s[10:11], s[0:1], 0x10
	s_load_b128 s[4:7], s[0:1], 0x0
	s_lshl_b32 s0, s15, 2
	s_mov_b32 s1, 0
	v_lshlrev_b32_e32 v1, 5, v0
	s_mov_b32 s3, -1
	s_waitcnt lgkmcnt(0)
	s_sub_i32 s2, s10, s0
	s_cmp_lt_u32 s10, s0
	s_mul_i32 s0, s0, s11
	s_cselect_b32 s10, s2, 4
	s_lshl_b64 s[8:9], s[0:1], 1
	s_mul_i32 s1, s11, s10
	s_add_u32 s0, s6, s8
	s_addc_u32 s6, s7, s9
	s_lshl_b32 s2, s1, 1
	s_and_b32 s1, s6, 0xffff
	s_clause 0x1
	buffer_load_b128 v[2:5], v1, s[0:3], 0 offen
	buffer_load_b128 v[6:9], v1, s[0:3], 16 offen
	s_mov_b32 s1, 0x3db504f3
	s_add_u32 s0, s4, s8
	s_addc_u32 s4, s5, s9
	s_lshl_b32 s2, s10, 8
	s_waitcnt vmcnt(1)
	v_cvt_f32_f16_e32 v12, v2
	v_lshrrev_b32_e32 v2, 16, v2
	v_cvt_f32_f16_e32 v13, v3
	v_lshrrev_b32_e32 v3, 16, v3
	;; [unrolled: 2-line block ×4, first 2 shown]
	s_waitcnt vmcnt(0)
	v_cvt_f32_f16_e32 v16, v6
	v_lshrrev_b32_e32 v6, 16, v6
	v_cvt_f32_f16_e32 v17, v7
	v_lshrrev_b32_e32 v7, 16, v7
	;; [unrolled: 2-line block ×4, first 2 shown]
	v_cvt_f32_f16_e32 v2, v2
	v_cvt_f32_f16_e32 v3, v3
	;; [unrolled: 1-line block ×5, first 2 shown]
	v_add_f32_e32 v20, v12, v2
	v_cvt_f32_f16_e32 v7, v7
	v_cvt_f32_f16_e32 v8, v8
	;; [unrolled: 1-line block ×3, first 2 shown]
	v_and_b32_e32 v10, 1, v0
	v_dual_sub_f32 v2, v12, v2 :: v_dual_and_b32 v11, 2, v0
	v_and_b32_e32 v0, 4, v0
	v_add_f32_e32 v12, v13, v3
	v_sub_f32_e32 v3, v13, v3
	v_add_f32_e32 v13, v14, v4
	v_sub_f32_e32 v4, v14, v4
	;; [unrolled: 2-line block ×8, first 2 shown]
	v_add_f32_e32 v20, v2, v3
	v_dual_sub_f32 v2, v2, v3 :: v_dual_add_f32 v3, v13, v14
	v_dual_sub_f32 v13, v13, v14 :: v_dual_add_f32 v14, v4, v5
	;; [unrolled: 1-line block ×7, first 2 shown]
	v_sub_f32_e32 v3, v19, v3
	v_add_f32_e32 v19, v20, v14
	v_sub_f32_e32 v14, v20, v14
	v_add_f32_e32 v20, v12, v13
	v_dual_sub_f32 v12, v12, v13 :: v_dual_add_f32 v13, v2, v4
	v_sub_f32_e32 v2, v2, v4
	v_add_f32_e32 v4, v5, v7
	v_sub_f32_e32 v5, v5, v7
	v_add_f32_e32 v7, v16, v18
	;; [unrolled: 2-line block ×5, first 2 shown]
	v_dual_sub_f32 v4, v9, v4 :: v_dual_add_f32 v9, v19, v7
	v_sub_f32_e32 v7, v19, v7
	v_add_f32_e32 v19, v20, v18
	v_sub_f32_e32 v18, v20, v18
	v_add_f32_e32 v20, v13, v17
	;; [unrolled: 2-line block ×4, first 2 shown]
	v_cmp_eq_u32_e32 vcc_lo, 0, v10
	v_sub_f32_dpp v21, v9, v9 quad_perm:[1,0,3,2] row_mask:0xf bank_mask:0xf bound_ctrl:1
	v_sub_f32_dpp v24, v17, v17 quad_perm:[1,0,3,2] row_mask:0xf bank_mask:0xf bound_ctrl:1
	v_add_f32_dpp v17, v17, v17 quad_perm:[1,0,3,2] row_mask:0xf bank_mask:0xf bound_ctrl:1
	v_sub_f32_e32 v14, v14, v16
	v_add_f32_e32 v16, v12, v15
	v_sub_f32_dpp v25, v5, v5 quad_perm:[1,0,3,2] row_mask:0xf bank_mask:0xf bound_ctrl:1
	v_add_f32_dpp v5, v5, v5 quad_perm:[1,0,3,2] row_mask:0xf bank_mask:0xf bound_ctrl:1
	v_dual_sub_f32 v12, v12, v15 :: v_dual_add_f32 v15, v2, v6
	v_add_f32_dpp v9, v9, v9 quad_perm:[1,0,3,2] row_mask:0xf bank_mask:0xf bound_ctrl:1
	v_sub_f32_dpp v22, v19, v19 quad_perm:[1,0,3,2] row_mask:0xf bank_mask:0xf bound_ctrl:1
	s_delay_alu instid0(VALU_DEP_4)
	v_cndmask_b32_e32 v5, v25, v5, vcc_lo
	v_add_f32_dpp v19, v19, v19 quad_perm:[1,0,3,2] row_mask:0xf bank_mask:0xf bound_ctrl:1
	v_sub_f32_dpp v23, v20, v20 quad_perm:[1,0,3,2] row_mask:0xf bank_mask:0xf bound_ctrl:1
	v_add_f32_dpp v20, v20, v20 quad_perm:[1,0,3,2] row_mask:0xf bank_mask:0xf bound_ctrl:1
	v_sub_f32_dpp v27, v15, v15 quad_perm:[1,0,3,2] row_mask:0xf bank_mask:0xf bound_ctrl:1
	v_add_f32_dpp v15, v15, v15 quad_perm:[1,0,3,2] row_mask:0xf bank_mask:0xf bound_ctrl:1
	v_sub_f32_e32 v2, v2, v6
	v_sub_f32_dpp v6, v8, v8 quad_perm:[1,0,3,2] row_mask:0xf bank_mask:0xf bound_ctrl:1
	v_add_f32_dpp v8, v8, v8 quad_perm:[1,0,3,2] row_mask:0xf bank_mask:0xf bound_ctrl:1
	v_sub_f32_dpp v28, v4, v4 quad_perm:[1,0,3,2] row_mask:0xf bank_mask:0xf bound_ctrl:1
	v_cndmask_b32_e32 v15, v27, v15, vcc_lo
	v_add_f32_dpp v4, v4, v4 quad_perm:[1,0,3,2] row_mask:0xf bank_mask:0xf bound_ctrl:1
	v_sub_f32_dpp v29, v7, v7 quad_perm:[1,0,3,2] row_mask:0xf bank_mask:0xf bound_ctrl:1
	v_add_f32_dpp v7, v7, v7 quad_perm:[1,0,3,2] row_mask:0xf bank_mask:0xf bound_ctrl:1
	v_sub_f32_dpp v30, v18, v18 quad_perm:[1,0,3,2] row_mask:0xf bank_mask:0xf bound_ctrl:1
	;; [unrolled: 2-line block ×6, first 2 shown]
	v_add_f32_dpp v2, v2, v2 quad_perm:[1,0,3,2] row_mask:0xf bank_mask:0xf bound_ctrl:1
	v_dual_cndmask_b32 v6, v6, v8 :: v_dual_cndmask_b32 v7, v29, v7
	v_dual_cndmask_b32 v8, v21, v9 :: v_dual_cndmask_b32 v9, v22, v19
	v_cndmask_b32_e32 v19, v23, v20, vcc_lo
	v_sub_f32_dpp v26, v16, v16 quad_perm:[1,0,3,2] row_mask:0xf bank_mask:0xf bound_ctrl:1
	v_add_f32_dpp v16, v16, v16 quad_perm:[1,0,3,2] row_mask:0xf bank_mask:0xf bound_ctrl:1
	v_cndmask_b32_e32 v17, v24, v17, vcc_lo
	v_sub_f32_dpp v33, v14, v14 quad_perm:[1,0,3,2] row_mask:0xf bank_mask:0xf bound_ctrl:1
	v_add_f32_dpp v14, v14, v14 quad_perm:[1,0,3,2] row_mask:0xf bank_mask:0xf bound_ctrl:1
	v_dual_cndmask_b32 v18, v30, v18 :: v_dual_cndmask_b32 v3, v32, v3
	v_dual_cndmask_b32 v16, v26, v16 :: v_dual_cndmask_b32 v13, v31, v13
	v_sub_f32_dpp v21, v9, v9 quad_perm:[2,3,0,1] row_mask:0xf bank_mask:0xf bound_ctrl:1
	v_add_f32_dpp v9, v9, v9 quad_perm:[2,3,0,1] row_mask:0xf bank_mask:0xf bound_ctrl:1
	v_cndmask_b32_e32 v4, v28, v4, vcc_lo
	v_sub_f32_dpp v23, v17, v17 quad_perm:[2,3,0,1] row_mask:0xf bank_mask:0xf bound_ctrl:1
	v_add_f32_dpp v17, v17, v17 quad_perm:[2,3,0,1] row_mask:0xf bank_mask:0xf bound_ctrl:1
	v_cndmask_b32_e32 v14, v33, v14, vcc_lo
	;; [unrolled: 3-line block ×4, first 2 shown]
	v_cmp_eq_u32_e32 vcc_lo, 0, v11
	v_sub_f32_dpp v12, v6, v6 quad_perm:[2,3,0,1] row_mask:0xf bank_mask:0xf bound_ctrl:1
	v_add_f32_dpp v6, v6, v6 quad_perm:[2,3,0,1] row_mask:0xf bank_mask:0xf bound_ctrl:1
	v_sub_f32_dpp v20, v8, v8 quad_perm:[2,3,0,1] row_mask:0xf bank_mask:0xf bound_ctrl:1
	v_add_f32_dpp v8, v8, v8 quad_perm:[2,3,0,1] row_mask:0xf bank_mask:0xf bound_ctrl:1
	v_cndmask_b32_e32 v15, v26, v15, vcc_lo
	v_cndmask_b32_e32 v5, v24, v5, vcc_lo
	v_sub_f32_dpp v22, v19, v19 quad_perm:[2,3,0,1] row_mask:0xf bank_mask:0xf bound_ctrl:1
	v_add_f32_dpp v19, v19, v19 quad_perm:[2,3,0,1] row_mask:0xf bank_mask:0xf bound_ctrl:1
	v_sub_f32_dpp v30, v13, v13 quad_perm:[2,3,0,1] row_mask:0xf bank_mask:0xf bound_ctrl:1
	v_add_f32_dpp v13, v13, v13 quad_perm:[2,3,0,1] row_mask:0xf bank_mask:0xf bound_ctrl:1
	;; [unrolled: 2-line block ×4, first 2 shown]
	v_dual_cndmask_b32 v6, v12, v6 :: v_dual_cndmask_b32 v13, v30, v13
	s_delay_alu instid0(VALU_DEP_4) | instskip(SKIP_3) | instid1(VALU_DEP_4)
	v_dual_cndmask_b32 v8, v20, v8 :: v_dual_cndmask_b32 v3, v31, v3
	v_cndmask_b32_e32 v17, v23, v17, vcc_lo
	v_mov_b32_dpp v23, v5 row_shl:4 row_mask:0xf bank_mask:0x5 bound_ctrl:1
	v_dual_cndmask_b32 v9, v21, v9 :: v_dual_cndmask_b32 v12, v22, v19
	v_mov_b32_dpp v19, v8 row_shl:4 row_mask:0xf bank_mask:0x5 bound_ctrl:1
	v_sub_f32_dpp v25, v16, v16 quad_perm:[2,3,0,1] row_mask:0xf bank_mask:0xf bound_ctrl:1
	s_delay_alu instid0(VALU_DEP_4)
	v_mov_b32_dpp v23, v5 row_shr:4 row_mask:0xf bank_mask:0xa bound_ctrl:1
	v_cndmask_b32_e32 v2, v11, v2, vcc_lo
	v_mov_b32_dpp v11, v6 row_shl:4 row_mask:0xf bank_mask:0x5 bound_ctrl:1
	v_add_f32_dpp v16, v16, v16 quad_perm:[2,3,0,1] row_mask:0xf bank_mask:0xf bound_ctrl:1
	v_sub_f32_dpp v27, v4, v4 quad_perm:[2,3,0,1] row_mask:0xf bank_mask:0xf bound_ctrl:1
	v_add_f32_dpp v4, v4, v4 quad_perm:[2,3,0,1] row_mask:0xf bank_mask:0xf bound_ctrl:1
	v_sub_f32_dpp v28, v7, v7 quad_perm:[2,3,0,1] row_mask:0xf bank_mask:0xf bound_ctrl:1
	v_add_f32_dpp v7, v7, v7 quad_perm:[2,3,0,1] row_mask:0xf bank_mask:0xf bound_ctrl:1
	v_mov_b32_dpp v20, v9 row_shl:4 row_mask:0xf bank_mask:0x5 bound_ctrl:1
	v_mov_b32_dpp v22, v17 row_shl:4 row_mask:0xf bank_mask:0x5 bound_ctrl:1
	v_mov_b32_dpp v11, v6 row_shr:4 row_mask:0xf bank_mask:0xa bound_ctrl:1
	v_mov_b32_dpp v19, v8 row_shr:4 row_mask:0xf bank_mask:0xa bound_ctrl:1
	v_sub_f32_dpp v29, v18, v18 quad_perm:[2,3,0,1] row_mask:0xf bank_mask:0xf bound_ctrl:1
	v_add_f32_dpp v18, v18, v18 quad_perm:[2,3,0,1] row_mask:0xf bank_mask:0xf bound_ctrl:1
	v_dual_cndmask_b32 v16, v25, v16 :: v_dual_cndmask_b32 v7, v28, v7
	v_mov_b32_dpp v20, v9 row_shr:4 row_mask:0xf bank_mask:0xa bound_ctrl:1
	v_cndmask_b32_e32 v4, v27, v4, vcc_lo
	v_mov_b32_dpp v22, v17 row_shr:4 row_mask:0xf bank_mask:0xa bound_ctrl:1
	v_sub_f32_e32 v34, v11, v6
	v_dual_add_f32 v6, v6, v11 :: v_dual_sub_f32 v11, v19, v8
	v_mov_b32_dpp v21, v12 row_shl:4 row_mask:0xf bank_mask:0x5 bound_ctrl:1
	v_sub_f32_dpp v32, v14, v14 quad_perm:[2,3,0,1] row_mask:0xf bank_mask:0xf bound_ctrl:1
	v_add_f32_dpp v14, v14, v14 quad_perm:[2,3,0,1] row_mask:0xf bank_mask:0xf bound_ctrl:1
	v_sub_f32_dpp v33, v10, v10 quad_perm:[2,3,0,1] row_mask:0xf bank_mask:0xf bound_ctrl:1
	v_add_f32_dpp v10, v10, v10 quad_perm:[2,3,0,1] row_mask:0xf bank_mask:0xf bound_ctrl:1
	v_cndmask_b32_e32 v18, v29, v18, vcc_lo
	v_mov_b32_dpp v24, v16 row_shl:4 row_mask:0xf bank_mask:0x5 bound_ctrl:1
	v_mov_b32_dpp v25, v15 row_shl:4 row_mask:0xf bank_mask:0x5 bound_ctrl:1
	;; [unrolled: 1-line block ×4, first 2 shown]
	v_mov_b32_dpp v21, v12 row_shr:4 row_mask:0xf bank_mask:0xa bound_ctrl:1
	v_cndmask_b32_e32 v14, v32, v14, vcc_lo
	v_mov_b32_dpp v24, v16 row_shr:4 row_mask:0xf bank_mask:0xa bound_ctrl:1
	v_cndmask_b32_e32 v10, v33, v10, vcc_lo
	v_mov_b32_dpp v25, v15 row_shr:4 row_mask:0xf bank_mask:0xa bound_ctrl:1
	v_mov_b32_dpp v27, v7 row_shr:4 row_mask:0xf bank_mask:0xa bound_ctrl:1
	;; [unrolled: 1-line block ×3, first 2 shown]
	v_add_f32_e32 v8, v8, v19
	v_sub_f32_e32 v19, v20, v9
	v_add_f32_e32 v9, v9, v20
	v_sub_f32_e32 v20, v21, v12
	;; [unrolled: 2-line block ×3, first 2 shown]
	v_mov_b32_dpp v28, v18 row_shl:4 row_mask:0xf bank_mask:0x5 bound_ctrl:1
	v_mov_b32_dpp v26, v4 row_shl:4 row_mask:0xf bank_mask:0x5 bound_ctrl:1
	v_mov_b32_dpp v29, v13 row_shl:4 row_mask:0xf bank_mask:0x5 bound_ctrl:1
	v_mov_b32_dpp v31, v14 row_shl:4 row_mask:0xf bank_mask:0x5 bound_ctrl:1
	v_add_f32_e32 v17, v17, v22
	v_mov_b32_dpp v28, v18 row_shr:4 row_mask:0xf bank_mask:0xa bound_ctrl:1
	v_dual_sub_f32 v22, v23, v5 :: v_dual_add_f32 v5, v5, v23
	v_sub_f32_e32 v23, v24, v16
	v_mov_b32_dpp v32, v10 row_shl:4 row_mask:0xf bank_mask:0x5 bound_ctrl:1
	v_mov_b32_dpp v33, v2 row_shl:4 row_mask:0xf bank_mask:0x5 bound_ctrl:1
	v_mov_b32_dpp v26, v4 row_shr:4 row_mask:0xf bank_mask:0xa bound_ctrl:1
	v_mov_b32_dpp v29, v13 row_shr:4 row_mask:0xf bank_mask:0xa bound_ctrl:1
	;; [unrolled: 1-line block ×4, first 2 shown]
	v_cmp_eq_u32_e32 vcc_lo, 0, v0
	v_mov_b32_dpp v33, v2 row_shr:4 row_mask:0xf bank_mask:0xa bound_ctrl:1
	v_add_f32_e32 v16, v16, v24
	v_dual_sub_f32 v24, v25, v15 :: v_dual_add_f32 v15, v15, v25
	v_dual_sub_f32 v25, v26, v4 :: v_dual_add_f32 v4, v4, v26
	v_cndmask_b32_e32 v11, v11, v8, vcc_lo
	v_sub_f32_e32 v26, v27, v7
	v_add_f32_e32 v7, v7, v27
	v_dual_sub_f32 v27, v28, v18 :: v_dual_add_f32 v18, v18, v28
	v_sub_f32_e32 v28, v29, v13
	v_add_f32_e32 v13, v13, v29
	v_sub_f32_e32 v29, v30, v3
	v_add_f32_e32 v3, v3, v30
	v_sub_f32_e32 v30, v31, v14
	v_dual_add_f32 v0, v10, v32 :: v_dual_cndmask_b32 v15, v24, v15
	v_cndmask_b32_e32 v8, v19, v9, vcc_lo
	v_dual_cndmask_b32 v9, v21, v17 :: v_dual_add_f32 v14, v14, v31
	v_sub_f32_e32 v31, v32, v10
	v_dual_sub_f32 v10, v33, v2 :: v_dual_cndmask_b32 v19, v26, v7
	v_add_f32_e32 v2, v2, v33
	v_cndmask_b32_e32 v17, v22, v5, vcc_lo
	v_dual_cndmask_b32 v5, v23, v16 :: v_dual_cndmask_b32 v6, v34, v6
	v_dual_cndmask_b32 v13, v28, v13 :: v_dual_cndmask_b32 v16, v25, v4
	;; [unrolled: 1-line block ×3, first 2 shown]
	v_cndmask_b32_e32 v0, v31, v0, vcc_lo
	v_cndmask_b32_e32 v12, v20, v12, vcc_lo
	;; [unrolled: 1-line block ×4, first 2 shown]
	v_fma_mixlo_f16 v2, v6, s1, 0
	v_fma_mixlo_f16 v3, v8, s1, 0
	;; [unrolled: 1-line block ×8, first 2 shown]
	v_fma_mixhi_f16 v5, v15, s1, 0
	v_fma_mixhi_f16 v4, v17, s1, 0
	;; [unrolled: 1-line block ×8, first 2 shown]
	s_and_b32 s1, s4, 0xffff
	buffer_store_b128 v[2:5], v1, s[0:3], 0 offen
	;;#ASMSTART
	s_nop 0
	;;#ASMEND
	buffer_store_b128 v[6:9], v1, s[0:3], 16 offen
	;;#ASMSTART
	s_nop 0
	;;#ASMEND
	s_nop 0
	s_sendmsg sendmsg(MSG_DEALLOC_VGPRS)
	s_endpgm
	.section	.rodata,"a",@progbits
	.p2align	6, 0x0
	.amdhsa_kernel _ZN5aiter50hadamard_rotate_activation_fp4quant_inplace_kernelIDF16_Li128ELb0ELi16EEEvPT_PKS1_iii
		.amdhsa_group_segment_fixed_size 0
		.amdhsa_private_segment_fixed_size 0
		.amdhsa_kernarg_size 28
		.amdhsa_user_sgpr_count 15
		.amdhsa_user_sgpr_dispatch_ptr 0
		.amdhsa_user_sgpr_queue_ptr 0
		.amdhsa_user_sgpr_kernarg_segment_ptr 1
		.amdhsa_user_sgpr_dispatch_id 0
		.amdhsa_user_sgpr_private_segment_size 0
		.amdhsa_wavefront_size32 1
		.amdhsa_uses_dynamic_stack 0
		.amdhsa_enable_private_segment 0
		.amdhsa_system_sgpr_workgroup_id_x 1
		.amdhsa_system_sgpr_workgroup_id_y 0
		.amdhsa_system_sgpr_workgroup_id_z 0
		.amdhsa_system_sgpr_workgroup_info 0
		.amdhsa_system_vgpr_workitem_id 0
		.amdhsa_next_free_vgpr 35
		.amdhsa_next_free_sgpr 16
		.amdhsa_reserve_vcc 1
		.amdhsa_float_round_mode_32 0
		.amdhsa_float_round_mode_16_64 0
		.amdhsa_float_denorm_mode_32 3
		.amdhsa_float_denorm_mode_16_64 3
		.amdhsa_dx10_clamp 1
		.amdhsa_ieee_mode 1
		.amdhsa_fp16_overflow 0
		.amdhsa_workgroup_processor_mode 1
		.amdhsa_memory_ordered 1
		.amdhsa_forward_progress 0
		.amdhsa_shared_vgpr_count 0
		.amdhsa_exception_fp_ieee_invalid_op 0
		.amdhsa_exception_fp_denorm_src 0
		.amdhsa_exception_fp_ieee_div_zero 0
		.amdhsa_exception_fp_ieee_overflow 0
		.amdhsa_exception_fp_ieee_underflow 0
		.amdhsa_exception_fp_ieee_inexact 0
		.amdhsa_exception_int_div_zero 0
	.end_amdhsa_kernel
	.section	.text._ZN5aiter50hadamard_rotate_activation_fp4quant_inplace_kernelIDF16_Li128ELb0ELi16EEEvPT_PKS1_iii,"axG",@progbits,_ZN5aiter50hadamard_rotate_activation_fp4quant_inplace_kernelIDF16_Li128ELb0ELi16EEEvPT_PKS1_iii,comdat
.Lfunc_end9:
	.size	_ZN5aiter50hadamard_rotate_activation_fp4quant_inplace_kernelIDF16_Li128ELb0ELi16EEEvPT_PKS1_iii, .Lfunc_end9-_ZN5aiter50hadamard_rotate_activation_fp4quant_inplace_kernelIDF16_Li128ELb0ELi16EEEvPT_PKS1_iii
                                        ; -- End function
	.section	.AMDGPU.csdata,"",@progbits
; Kernel info:
; codeLenInByte = 1812
; NumSgprs: 18
; NumVgprs: 35
; ScratchSize: 0
; MemoryBound: 0
; FloatMode: 240
; IeeeMode: 1
; LDSByteSize: 0 bytes/workgroup (compile time only)
; SGPRBlocks: 2
; VGPRBlocks: 4
; NumSGPRsForWavesPerEU: 18
; NumVGPRsForWavesPerEU: 35
; Occupancy: 16
; WaveLimiterHint : 0
; COMPUTE_PGM_RSRC2:SCRATCH_EN: 0
; COMPUTE_PGM_RSRC2:USER_SGPR: 15
; COMPUTE_PGM_RSRC2:TRAP_HANDLER: 0
; COMPUTE_PGM_RSRC2:TGID_X_EN: 1
; COMPUTE_PGM_RSRC2:TGID_Y_EN: 0
; COMPUTE_PGM_RSRC2:TGID_Z_EN: 0
; COMPUTE_PGM_RSRC2:TIDIG_COMP_CNT: 0
	.section	.text._ZN5aiter50hadamard_rotate_activation_fp4quant_inplace_kernelItLi128ELb0ELi16EEEvPT_PKS1_iii,"axG",@progbits,_ZN5aiter50hadamard_rotate_activation_fp4quant_inplace_kernelItLi128ELb0ELi16EEEvPT_PKS1_iii,comdat
	.protected	_ZN5aiter50hadamard_rotate_activation_fp4quant_inplace_kernelItLi128ELb0ELi16EEEvPT_PKS1_iii ; -- Begin function _ZN5aiter50hadamard_rotate_activation_fp4quant_inplace_kernelItLi128ELb0ELi16EEEvPT_PKS1_iii
	.globl	_ZN5aiter50hadamard_rotate_activation_fp4quant_inplace_kernelItLi128ELb0ELi16EEEvPT_PKS1_iii
	.p2align	8
	.type	_ZN5aiter50hadamard_rotate_activation_fp4quant_inplace_kernelItLi128ELb0ELi16EEEvPT_PKS1_iii,@function
_ZN5aiter50hadamard_rotate_activation_fp4quant_inplace_kernelItLi128ELb0ELi16EEEvPT_PKS1_iii: ; @_ZN5aiter50hadamard_rotate_activation_fp4quant_inplace_kernelItLi128ELb0ELi16EEEvPT_PKS1_iii
; %bb.0:
	s_clause 0x1
	s_load_b64 s[10:11], s[0:1], 0x10
	s_load_b128 s[4:7], s[0:1], 0x0
	s_lshl_b32 s0, s15, 2
	s_mov_b32 s1, 0
	v_lshlrev_b32_e32 v1, 5, v0
	s_mov_b32 s3, -1
	s_waitcnt lgkmcnt(0)
	s_sub_i32 s2, s10, s0
	s_cmp_lt_u32 s10, s0
	s_mul_i32 s0, s0, s11
	s_cselect_b32 s10, s2, 4
	s_lshl_b64 s[8:9], s[0:1], 1
	s_mul_i32 s1, s11, s10
	s_add_u32 s0, s6, s8
	s_addc_u32 s6, s7, s9
	s_lshl_b32 s2, s1, 1
	s_and_b32 s1, s6, 0xffff
	s_clause 0x1
	buffer_load_b128 v[2:5], v1, s[0:3], 16 offen
	buffer_load_b128 v[6:9], v1, s[0:3], 0 offen
	s_add_u32 s0, s4, s8
	s_addc_u32 s1, s5, s9
	s_lshl_b32 s2, s10, 8
	s_and_b32 s1, s1, 0xffff
	s_waitcnt vmcnt(1)
	v_and_b32_e32 v16, 0xffff, v4
	s_waitcnt vmcnt(0)
	v_and_b32_e32 v17, 0xffff, v8
	v_lshrrev_b32_e32 v8, 16, v8
	v_lshrrev_b32_e32 v4, 16, v4
	v_cvt_f32_u32_e32 v16, v16
	s_delay_alu instid0(VALU_DEP_4) | instskip(NEXT) | instid1(VALU_DEP_4)
	v_cvt_f32_u32_e32 v17, v17
	v_cvt_f32_u32_e32 v8, v8
	v_and_b32_e32 v13, 0xffff, v6
	v_lshrrev_b32_e32 v6, 16, v6
	v_cvt_f32_u32_e32 v4, v4
	v_and_b32_e32 v14, 0xffff, v3
	v_sub_f32_e32 v22, v17, v8
	v_cvt_f32_u32_e32 v13, v13
	v_cvt_f32_u32_e32 v6, v6
	v_and_b32_e32 v15, 0xffff, v7
	v_lshrrev_b32_e32 v7, 16, v7
	v_lshrrev_b32_e32 v3, 16, v3
	s_delay_alu instid0(VALU_DEP_4)
	v_sub_f32_e32 v20, v13, v6
	v_add_f32_e32 v6, v13, v6
	v_cvt_f32_u32_e32 v15, v15
	v_cvt_f32_u32_e32 v7, v7
	v_and_b32_e32 v12, 0xffff, v2
	v_lshrrev_b32_e32 v2, 16, v2
	v_and_b32_e32 v10, 1, v0
	v_cvt_f32_u32_e32 v3, v3
	v_sub_f32_e32 v21, v15, v7
	v_dual_add_f32 v7, v15, v7 :: v_dual_and_b32 v18, 0xffff, v5
	v_lshrrev_b32_e32 v5, 16, v5
	v_cvt_f32_u32_e32 v12, v12
	v_cvt_f32_u32_e32 v2, v2
	s_delay_alu instid0(VALU_DEP_4)
	v_sub_f32_e32 v15, v6, v7
	v_add_f32_e32 v13, v16, v4
	v_cvt_f32_u32_e32 v14, v14
	v_and_b32_e32 v19, 0xffff, v9
	v_lshrrev_b32_e32 v9, 16, v9
	v_dual_add_f32 v24, v12, v2 :: v_dual_and_b32 v11, 2, v0
	v_cvt_f32_u32_e32 v18, v18
	v_cvt_f32_u32_e32 v5, v5
	s_delay_alu instid0(VALU_DEP_4)
	v_cvt_f32_u32_e32 v9, v9
	v_sub_f32_e32 v2, v12, v2
	v_add_f32_e32 v12, v14, v3
	v_cvt_f32_u32_e32 v19, v19
	v_dual_sub_f32 v3, v14, v3 :: v_dual_and_b32 v0, 4, v0
	v_add_f32_e32 v8, v17, v8
	s_delay_alu instid0(VALU_DEP_3) | instskip(SKIP_3) | instid1(VALU_DEP_4)
	v_dual_sub_f32 v4, v16, v4 :: v_dual_sub_f32 v23, v19, v9
	v_add_f32_e32 v14, v18, v5
	v_add_f32_e32 v9, v19, v9
	v_sub_f32_e32 v5, v18, v5
	v_dual_add_f32 v16, v20, v21 :: v_dual_add_f32 v19, v22, v23
	v_dual_sub_f32 v17, v20, v21 :: v_dual_sub_f32 v20, v22, v23
	v_add_f32_e32 v21, v24, v12
	v_sub_f32_e32 v18, v8, v9
	v_dual_add_f32 v6, v6, v7 :: v_dual_sub_f32 v7, v24, v12
	v_add_f32_e32 v12, v2, v3
	v_dual_sub_f32 v2, v2, v3 :: v_dual_add_f32 v3, v8, v9
	v_add_f32_e32 v8, v13, v14
	v_sub_f32_e32 v9, v13, v14
	v_add_f32_e32 v13, v4, v5
	s_delay_alu instid0(VALU_DEP_4)
	v_dual_sub_f32 v4, v4, v5 :: v_dual_sub_f32 v5, v6, v3
	v_add_f32_e32 v14, v16, v19
	v_dual_sub_f32 v16, v16, v19 :: v_dual_add_f32 v19, v15, v18
	v_dual_sub_f32 v15, v15, v18 :: v_dual_add_f32 v18, v17, v20
	v_add_f32_e32 v3, v6, v3
	v_sub_f32_e32 v17, v17, v20
	v_add_f32_e32 v20, v21, v8
	v_sub_f32_e32 v6, v21, v8
	;; [unrolled: 2-line block ×8, first 2 shown]
	v_add_f32_e32 v19, v18, v9
	v_dual_sub_f32 v9, v18, v9 :: v_dual_add_f32 v18, v5, v6
	v_sub_f32_e32 v5, v5, v6
	v_sub_f32_dpp v21, v20, v20 quad_perm:[1,0,3,2] row_mask:0xf bank_mask:0xf bound_ctrl:1
	v_add_f32_dpp v20, v20, v20 quad_perm:[1,0,3,2] row_mask:0xf bank_mask:0xf bound_ctrl:1
	v_sub_f32_dpp v23, v19, v19 quad_perm:[1,0,3,2] row_mask:0xf bank_mask:0xf bound_ctrl:1
	v_add_f32_dpp v19, v19, v19 quad_perm:[1,0,3,2] row_mask:0xf bank_mask:0xf bound_ctrl:1
	v_cmp_eq_u32_e32 vcc_lo, 0, v10
	v_add_f32_e32 v6, v16, v12
	v_sub_f32_e32 v12, v16, v12
	v_add_f32_e32 v16, v15, v7
	v_sub_f32_e32 v7, v15, v7
	v_add_f32_e32 v15, v17, v2
	v_sub_f32_dpp v28, v3, v3 quad_perm:[1,0,3,2] row_mask:0xf bank_mask:0xf bound_ctrl:1
	v_add_f32_dpp v3, v3, v3 quad_perm:[1,0,3,2] row_mask:0xf bank_mask:0xf bound_ctrl:1
	v_sub_f32_e32 v2, v17, v2
	v_sub_f32_dpp v17, v4, v4 quad_perm:[1,0,3,2] row_mask:0xf bank_mask:0xf bound_ctrl:1
	v_add_f32_dpp v4, v4, v4 quad_perm:[1,0,3,2] row_mask:0xf bank_mask:0xf bound_ctrl:1
	v_sub_f32_dpp v27, v15, v15 quad_perm:[1,0,3,2] row_mask:0xf bank_mask:0xf bound_ctrl:1
	v_cndmask_b32_e32 v3, v28, v3, vcc_lo
	v_add_f32_dpp v15, v15, v15 quad_perm:[1,0,3,2] row_mask:0xf bank_mask:0xf bound_ctrl:1
	v_sub_f32_dpp v30, v13, v13 quad_perm:[1,0,3,2] row_mask:0xf bank_mask:0xf bound_ctrl:1
	v_add_f32_dpp v13, v13, v13 quad_perm:[1,0,3,2] row_mask:0xf bank_mask:0xf bound_ctrl:1
	v_sub_f32_dpp v22, v14, v14 quad_perm:[1,0,3,2] row_mask:0xf bank_mask:0xf bound_ctrl:1
	;; [unrolled: 2-line block ×8, first 2 shown]
	v_add_f32_dpp v2, v2, v2 quad_perm:[1,0,3,2] row_mask:0xf bank_mask:0xf bound_ctrl:1
	v_dual_cndmask_b32 v4, v17, v4 :: v_dual_cndmask_b32 v13, v30, v13
	v_cndmask_b32_e32 v17, v21, v20, vcc_lo
	v_sub_f32_dpp v26, v16, v16 quad_perm:[1,0,3,2] row_mask:0xf bank_mask:0xf bound_ctrl:1
	v_add_f32_dpp v16, v16, v16 quad_perm:[1,0,3,2] row_mask:0xf bank_mask:0xf bound_ctrl:1
	v_cndmask_b32_e32 v19, v23, v19, vcc_lo
	v_sub_f32_dpp v25, v6, v6 quad_perm:[1,0,3,2] row_mask:0xf bank_mask:0xf bound_ctrl:1
	v_add_f32_dpp v6, v6, v6 quad_perm:[1,0,3,2] row_mask:0xf bank_mask:0xf bound_ctrl:1
	;; [unrolled: 3-line block ×3, first 2 shown]
	v_dual_cndmask_b32 v14, v22, v14 :: v_dual_cndmask_b32 v9, v31, v9
	v_dual_cndmask_b32 v18, v24, v18 :: v_dual_cndmask_b32 v7, v34, v7
	;; [unrolled: 1-line block ×3, first 2 shown]
	v_sub_f32_dpp v20, v17, v17 quad_perm:[2,3,0,1] row_mask:0xf bank_mask:0xf bound_ctrl:1
	v_add_f32_dpp v17, v17, v17 quad_perm:[2,3,0,1] row_mask:0xf bank_mask:0xf bound_ctrl:1
	v_sub_f32_dpp v22, v19, v19 quad_perm:[2,3,0,1] row_mask:0xf bank_mask:0xf bound_ctrl:1
	v_add_f32_dpp v19, v19, v19 quad_perm:[2,3,0,1] row_mask:0xf bank_mask:0xf bound_ctrl:1
	v_cndmask_b32_e32 v8, v29, v8, vcc_lo
	v_sub_f32_dpp v27, v3, v3 quad_perm:[2,3,0,1] row_mask:0xf bank_mask:0xf bound_ctrl:1
	v_add_f32_dpp v3, v3, v3 quad_perm:[2,3,0,1] row_mask:0xf bank_mask:0xf bound_ctrl:1
	v_cndmask_b32_e32 v16, v26, v16, vcc_lo
	;; [unrolled: 3-line block ×4, first 2 shown]
	v_sub_f32_dpp v10, v4, v4 quad_perm:[2,3,0,1] row_mask:0xf bank_mask:0xf bound_ctrl:1
	v_add_f32_dpp v4, v4, v4 quad_perm:[2,3,0,1] row_mask:0xf bank_mask:0xf bound_ctrl:1
	v_cmp_eq_u32_e32 vcc_lo, 0, v11
	v_sub_f32_dpp v21, v14, v14 quad_perm:[2,3,0,1] row_mask:0xf bank_mask:0xf bound_ctrl:1
	v_add_f32_dpp v14, v14, v14 quad_perm:[2,3,0,1] row_mask:0xf bank_mask:0xf bound_ctrl:1
	v_sub_f32_dpp v31, v5, v5 quad_perm:[2,3,0,1] row_mask:0xf bank_mask:0xf bound_ctrl:1
	v_add_f32_dpp v5, v5, v5 quad_perm:[2,3,0,1] row_mask:0xf bank_mask:0xf bound_ctrl:1
	v_cndmask_b32_e32 v13, v29, v13, vcc_lo
	v_sub_f32_dpp v33, v7, v7 quad_perm:[2,3,0,1] row_mask:0xf bank_mask:0xf bound_ctrl:1
	v_add_f32_dpp v7, v7, v7 quad_perm:[2,3,0,1] row_mask:0xf bank_mask:0xf bound_ctrl:1
	s_delay_alu instid0(VALU_DEP_4) | instskip(SKIP_2) | instid1(VALU_DEP_4)
	v_dual_cndmask_b32 v4, v10, v4 :: v_dual_cndmask_b32 v5, v31, v5
	v_cndmask_b32_e32 v10, v20, v17, vcc_lo
	v_sub_f32_dpp v30, v9, v9 quad_perm:[2,3,0,1] row_mask:0xf bank_mask:0xf bound_ctrl:1
	v_cndmask_b32_e32 v7, v33, v7, vcc_lo
	v_add_f32_dpp v9, v9, v9 quad_perm:[2,3,0,1] row_mask:0xf bank_mask:0xf bound_ctrl:1
	v_sub_f32_dpp v11, v2, v2 quad_perm:[2,3,0,1] row_mask:0xf bank_mask:0xf bound_ctrl:1
	v_add_f32_dpp v2, v2, v2 quad_perm:[2,3,0,1] row_mask:0xf bank_mask:0xf bound_ctrl:1
	v_dual_cndmask_b32 v14, v21, v14 :: v_dual_cndmask_b32 v17, v22, v19
	s_delay_alu instid0(VALU_DEP_4)
	v_cndmask_b32_e32 v9, v30, v9, vcc_lo
	v_cndmask_b32_e32 v15, v26, v15, vcc_lo
	;; [unrolled: 1-line block ×3, first 2 shown]
	v_sub_f32_dpp v25, v16, v16 quad_perm:[2,3,0,1] row_mask:0xf bank_mask:0xf bound_ctrl:1
	v_add_f32_dpp v16, v16, v16 quad_perm:[2,3,0,1] row_mask:0xf bank_mask:0xf bound_ctrl:1
	v_mov_b32_dpp v19, v10 row_shl:4 row_mask:0xf bank_mask:0x5 bound_ctrl:1
	v_sub_f32_dpp v23, v18, v18 quad_perm:[2,3,0,1] row_mask:0xf bank_mask:0xf bound_ctrl:1
	v_add_f32_dpp v18, v18, v18 quad_perm:[2,3,0,1] row_mask:0xf bank_mask:0xf bound_ctrl:1
	v_sub_f32_dpp v24, v6, v6 quad_perm:[2,3,0,1] row_mask:0xf bank_mask:0xf bound_ctrl:1
	v_add_f32_dpp v6, v6, v6 quad_perm:[2,3,0,1] row_mask:0xf bank_mask:0xf bound_ctrl:1
	;; [unrolled: 2-line block ×3, first 2 shown]
	v_mov_b32_dpp v20, v14 row_shl:4 row_mask:0xf bank_mask:0x5 bound_ctrl:1
	v_mov_b32_dpp v21, v17 row_shl:4 row_mask:0xf bank_mask:0x5 bound_ctrl:1
	;; [unrolled: 1-line block ×3, first 2 shown]
	v_mov_b32_dpp v19, v10 row_shr:4 row_mask:0xf bank_mask:0xa bound_ctrl:1
	v_cndmask_b32_e32 v16, v25, v16, vcc_lo
	v_cndmask_b32_e32 v2, v11, v2, vcc_lo
	v_mov_b32_dpp v11, v4 row_shl:4 row_mask:0xf bank_mask:0x5 bound_ctrl:1
	v_mov_b32_dpp v25, v15 row_shl:4 row_mask:0xf bank_mask:0x5 bound_ctrl:1
	;; [unrolled: 1-line block ×3, first 2 shown]
	v_mov_b32_dpp v20, v14 row_shr:4 row_mask:0xf bank_mask:0xa bound_ctrl:1
	v_mov_b32_dpp v21, v17 row_shr:4 row_mask:0xf bank_mask:0xa bound_ctrl:1
	v_cndmask_b32_e32 v18, v23, v18, vcc_lo
	v_mov_b32_dpp v11, v4 row_shr:4 row_mask:0xf bank_mask:0xa bound_ctrl:1
	v_mov_b32_dpp v25, v15 row_shr:4 row_mask:0xf bank_mask:0xa bound_ctrl:1
	v_cndmask_b32_e32 v6, v24, v6, vcc_lo
	v_mov_b32_dpp v26, v3 row_shr:4 row_mask:0xf bank_mask:0xa bound_ctrl:1
	v_cndmask_b32_e32 v12, v32, v12, vcc_lo
	v_mov_b32_dpp v32, v7 row_shl:4 row_mask:0xf bank_mask:0x5 bound_ctrl:1
	v_sub_f32_dpp v28, v8, v8 quad_perm:[2,3,0,1] row_mask:0xf bank_mask:0xf bound_ctrl:1
	v_add_f32_dpp v8, v8, v8 quad_perm:[2,3,0,1] row_mask:0xf bank_mask:0xf bound_ctrl:1
	v_mov_b32_dpp v23, v6 row_shl:4 row_mask:0xf bank_mask:0x5 bound_ctrl:1
	v_mov_b32_dpp v29, v9 row_shr:4 row_mask:0xf bank_mask:0xa bound_ctrl:1
	v_mov_b32_dpp v32, v7 row_shr:4 row_mask:0xf bank_mask:0xa bound_ctrl:1
	v_sub_f32_e32 v34, v11, v4
	v_dual_add_f32 v4, v4, v11 :: v_dual_sub_f32 v11, v19, v10
	v_mov_b32_dpp v24, v16 row_shl:4 row_mask:0xf bank_mask:0x5 bound_ctrl:1
	v_dual_add_f32 v10, v10, v19 :: v_dual_sub_f32 v19, v20, v14
	v_add_f32_e32 v14, v14, v20
	v_sub_f32_e32 v20, v21, v17
	v_add_f32_e32 v17, v17, v21
	v_mov_b32_dpp v22, v18 row_shl:4 row_mask:0xf bank_mask:0x5 bound_ctrl:1
	v_mov_b32_dpp v30, v5 row_shl:4 row_mask:0xf bank_mask:0x5 bound_ctrl:1
	v_mov_b32_dpp v23, v6 row_shr:4 row_mask:0xf bank_mask:0xa bound_ctrl:1
	v_mov_b32_dpp v24, v16 row_shr:4 row_mask:0xf bank_mask:0xa bound_ctrl:1
	s_delay_alu instid0(VALU_DEP_4)
	v_mov_b32_dpp v22, v18 row_shr:4 row_mask:0xf bank_mask:0xa bound_ctrl:1
	v_cndmask_b32_e32 v8, v28, v8, vcc_lo
	v_mov_b32_dpp v28, v13 row_shl:4 row_mask:0xf bank_mask:0x5 bound_ctrl:1
	v_mov_b32_dpp v30, v5 row_shr:4 row_mask:0xf bank_mask:0xa bound_ctrl:1
	v_cmp_eq_u32_e32 vcc_lo, 0, v0
	v_sub_f32_e32 v21, v22, v18
	v_mov_b32_dpp v27, v8 row_shl:4 row_mask:0xf bank_mask:0x5 bound_ctrl:1
	v_mov_b32_dpp v28, v13 row_shr:4 row_mask:0xf bank_mask:0xa bound_ctrl:1
	v_add_f32_e32 v18, v18, v22
	v_sub_f32_e32 v22, v23, v6
	v_dual_add_f32 v6, v6, v23 :: v_dual_sub_f32 v23, v24, v16
	v_mov_b32_dpp v33, v2 row_shl:4 row_mask:0xf bank_mask:0x5 bound_ctrl:1
	v_mov_b32_dpp v27, v8 row_shr:4 row_mask:0xf bank_mask:0xa bound_ctrl:1
	s_delay_alu instid0(VALU_DEP_2)
	v_mov_b32_dpp v33, v2 row_shr:4 row_mask:0xf bank_mask:0xa bound_ctrl:1
	v_add_f32_e32 v16, v16, v24
	v_dual_sub_f32 v24, v25, v15 :: v_dual_add_f32 v15, v15, v25
	v_sub_f32_e32 v25, v26, v3
	v_mov_b32_dpp v31, v12 row_shl:4 row_mask:0xf bank_mask:0x5 bound_ctrl:1
	v_add_f32_e32 v3, v3, v26
	v_sub_f32_e32 v26, v27, v8
	v_add_f32_e32 v8, v8, v27
	v_sub_f32_e32 v27, v28, v13
	v_mov_b32_dpp v31, v12 row_shr:4 row_mask:0xf bank_mask:0xa bound_ctrl:1
	v_add_f32_e32 v13, v13, v28
	v_sub_f32_e32 v28, v29, v9
	v_dual_add_f32 v9, v9, v29 :: v_dual_cndmask_b32 v10, v11, v10
	v_cndmask_b32_e32 v11, v19, v14, vcc_lo
	v_sub_f32_e32 v29, v30, v5
	v_dual_add_f32 v5, v5, v30 :: v_dual_sub_f32 v30, v31, v12
	v_cndmask_b32_e32 v3, v25, v3, vcc_lo
	v_add_f32_e32 v12, v12, v31
	v_sub_f32_e32 v31, v32, v7
	s_delay_alu instid0(VALU_DEP_4)
	v_dual_cndmask_b32 v5, v29, v5 :: v_dual_cndmask_b32 v4, v34, v4
	v_mul_f32_e32 v11, 0x3db504f3, v11
	v_dual_cndmask_b32 v15, v24, v15 :: v_dual_add_f32 v0, v7, v32
	v_cndmask_b32_e32 v9, v28, v9, vcc_lo
	v_dual_sub_f32 v7, v33, v2 :: v_dual_add_f32 v2, v2, v33
	v_dual_cndmask_b32 v14, v20, v17 :: v_dual_cndmask_b32 v17, v21, v18
	s_delay_alu instid0(VALU_DEP_3) | instskip(SKIP_3) | instid1(VALU_DEP_3)
	v_dual_cndmask_b32 v16, v23, v16 :: v_dual_mul_f32 v19, 0x3db504f3, v9
	v_dual_cndmask_b32 v13, v27, v13 :: v_dual_cndmask_b32 v6, v22, v6
	v_cndmask_b32_e32 v12, v30, v12, vcc_lo
	v_cndmask_b32_e32 v0, v31, v0, vcc_lo
	v_dual_cndmask_b32 v2, v7, v2 :: v_dual_mul_f32 v13, 0x3db504f3, v13
	v_cndmask_b32_e32 v8, v26, v8, vcc_lo
	v_dual_mul_f32 v7, 0x3db504f3, v4 :: v_dual_mul_f32 v4, 0x3db504f3, v17
	s_delay_alu instid0(VALU_DEP_3)
	v_mul_f32_e32 v9, 0x3db504f3, v2
	v_mul_f32_e32 v6, 0x3db504f3, v6
	v_dual_mul_f32 v16, 0x3db504f3, v16 :: v_dual_mul_f32 v15, 0x3db504f3, v15
	v_dual_mul_f32 v10, 0x3db504f3, v10 :: v_dual_mul_f32 v17, 0x3db504f3, v3
	v_mul_f32_e32 v14, 0x3db504f3, v14
	v_mul_f32_e32 v18, 0x3db504f3, v8
	;; [unrolled: 1-line block ×5, first 2 shown]
	v_perm_b32 v5, v15, v16, 0x7060302
	v_perm_b32 v4, v6, v4, 0x7060302
	;; [unrolled: 1-line block ×8, first 2 shown]
	buffer_store_b128 v[2:5], v1, s[0:3], 0 offen
	;;#ASMSTART
	s_nop 0
	;;#ASMEND
	buffer_store_b128 v[6:9], v1, s[0:3], 16 offen
	;;#ASMSTART
	s_nop 0
	;;#ASMEND
	s_nop 0
	s_sendmsg sendmsg(MSG_DEALLOC_VGPRS)
	s_endpgm
	.section	.rodata,"a",@progbits
	.p2align	6, 0x0
	.amdhsa_kernel _ZN5aiter50hadamard_rotate_activation_fp4quant_inplace_kernelItLi128ELb0ELi16EEEvPT_PKS1_iii
		.amdhsa_group_segment_fixed_size 0
		.amdhsa_private_segment_fixed_size 0
		.amdhsa_kernarg_size 28
		.amdhsa_user_sgpr_count 15
		.amdhsa_user_sgpr_dispatch_ptr 0
		.amdhsa_user_sgpr_queue_ptr 0
		.amdhsa_user_sgpr_kernarg_segment_ptr 1
		.amdhsa_user_sgpr_dispatch_id 0
		.amdhsa_user_sgpr_private_segment_size 0
		.amdhsa_wavefront_size32 1
		.amdhsa_uses_dynamic_stack 0
		.amdhsa_enable_private_segment 0
		.amdhsa_system_sgpr_workgroup_id_x 1
		.amdhsa_system_sgpr_workgroup_id_y 0
		.amdhsa_system_sgpr_workgroup_id_z 0
		.amdhsa_system_sgpr_workgroup_info 0
		.amdhsa_system_vgpr_workitem_id 0
		.amdhsa_next_free_vgpr 35
		.amdhsa_next_free_sgpr 16
		.amdhsa_reserve_vcc 1
		.amdhsa_float_round_mode_32 0
		.amdhsa_float_round_mode_16_64 0
		.amdhsa_float_denorm_mode_32 3
		.amdhsa_float_denorm_mode_16_64 3
		.amdhsa_dx10_clamp 1
		.amdhsa_ieee_mode 1
		.amdhsa_fp16_overflow 0
		.amdhsa_workgroup_processor_mode 1
		.amdhsa_memory_ordered 1
		.amdhsa_forward_progress 0
		.amdhsa_shared_vgpr_count 0
		.amdhsa_exception_fp_ieee_invalid_op 0
		.amdhsa_exception_fp_denorm_src 0
		.amdhsa_exception_fp_ieee_div_zero 0
		.amdhsa_exception_fp_ieee_overflow 0
		.amdhsa_exception_fp_ieee_underflow 0
		.amdhsa_exception_fp_ieee_inexact 0
		.amdhsa_exception_int_div_zero 0
	.end_amdhsa_kernel
	.section	.text._ZN5aiter50hadamard_rotate_activation_fp4quant_inplace_kernelItLi128ELb0ELi16EEEvPT_PKS1_iii,"axG",@progbits,_ZN5aiter50hadamard_rotate_activation_fp4quant_inplace_kernelItLi128ELb0ELi16EEEvPT_PKS1_iii,comdat
.Lfunc_end10:
	.size	_ZN5aiter50hadamard_rotate_activation_fp4quant_inplace_kernelItLi128ELb0ELi16EEEvPT_PKS1_iii, .Lfunc_end10-_ZN5aiter50hadamard_rotate_activation_fp4quant_inplace_kernelItLi128ELb0ELi16EEEvPT_PKS1_iii
                                        ; -- End function
	.section	.AMDGPU.csdata,"",@progbits
; Kernel info:
; codeLenInByte = 1992
; NumSgprs: 18
; NumVgprs: 35
; ScratchSize: 0
; MemoryBound: 0
; FloatMode: 240
; IeeeMode: 1
; LDSByteSize: 0 bytes/workgroup (compile time only)
; SGPRBlocks: 2
; VGPRBlocks: 4
; NumSGPRsForWavesPerEU: 18
; NumVGPRsForWavesPerEU: 35
; Occupancy: 16
; WaveLimiterHint : 0
; COMPUTE_PGM_RSRC2:SCRATCH_EN: 0
; COMPUTE_PGM_RSRC2:USER_SGPR: 15
; COMPUTE_PGM_RSRC2:TRAP_HANDLER: 0
; COMPUTE_PGM_RSRC2:TGID_X_EN: 1
; COMPUTE_PGM_RSRC2:TGID_Y_EN: 0
; COMPUTE_PGM_RSRC2:TGID_Z_EN: 0
; COMPUTE_PGM_RSRC2:TIDIG_COMP_CNT: 0
	.section	.text._ZN5aiter50hadamard_rotate_activation_fp4quant_inplace_kernelIDF16_Li256ELb0ELi16EEEvPT_PKS1_iii,"axG",@progbits,_ZN5aiter50hadamard_rotate_activation_fp4quant_inplace_kernelIDF16_Li256ELb0ELi16EEEvPT_PKS1_iii,comdat
	.protected	_ZN5aiter50hadamard_rotate_activation_fp4quant_inplace_kernelIDF16_Li256ELb0ELi16EEEvPT_PKS1_iii ; -- Begin function _ZN5aiter50hadamard_rotate_activation_fp4quant_inplace_kernelIDF16_Li256ELb0ELi16EEEvPT_PKS1_iii
	.globl	_ZN5aiter50hadamard_rotate_activation_fp4quant_inplace_kernelIDF16_Li256ELb0ELi16EEEvPT_PKS1_iii
	.p2align	8
	.type	_ZN5aiter50hadamard_rotate_activation_fp4quant_inplace_kernelIDF16_Li256ELb0ELi16EEEvPT_PKS1_iii,@function
_ZN5aiter50hadamard_rotate_activation_fp4quant_inplace_kernelIDF16_Li256ELb0ELi16EEEvPT_PKS1_iii: ; @_ZN5aiter50hadamard_rotate_activation_fp4quant_inplace_kernelIDF16_Li256ELb0ELi16EEEvPT_PKS1_iii
; %bb.0:
	s_clause 0x1
	s_load_b64 s[10:11], s[0:1], 0x10
	s_load_b128 s[4:7], s[0:1], 0x0
	s_lshl_b32 s0, s15, 1
	s_mov_b32 s1, 0
	v_lshlrev_b32_e32 v1, 5, v0
	s_mov_b32 s3, -1
	s_waitcnt lgkmcnt(0)
	s_sub_i32 s2, s10, s0
	s_cmp_lt_u32 s10, s0
	s_mul_i32 s0, s0, s11
	s_cselect_b32 s10, s2, 2
	s_lshl_b64 s[8:9], s[0:1], 1
	s_mul_i32 s1, s11, s10
	s_add_u32 s0, s6, s8
	s_addc_u32 s6, s7, s9
	s_lshl_b32 s2, s1, 1
	s_and_b32 s1, s6, 0xffff
	s_clause 0x1
	buffer_load_b128 v[2:5], v1, s[0:3], 0 offen
	buffer_load_b128 v[6:9], v1, s[0:3], 16 offen
	s_mov_b32 s1, 0x3d800000
	s_add_u32 s0, s4, s8
	s_addc_u32 s4, s5, s9
	s_lshl_b32 s2, s10, 9
	s_waitcnt vmcnt(1)
	v_cvt_f32_f16_e32 v13, v2
	v_lshrrev_b32_e32 v2, 16, v2
	v_cvt_f32_f16_e32 v14, v3
	v_lshrrev_b32_e32 v3, 16, v3
	v_cvt_f32_f16_e32 v15, v4
	v_lshrrev_b32_e32 v4, 16, v4
	v_cvt_f32_f16_e32 v16, v5
	v_lshrrev_b32_e32 v5, 16, v5
	s_waitcnt vmcnt(0)
	v_cvt_f32_f16_e32 v17, v6
	v_lshrrev_b32_e32 v6, 16, v6
	v_cvt_f32_f16_e32 v18, v7
	v_lshrrev_b32_e32 v7, 16, v7
	;; [unrolled: 2-line block ×4, first 2 shown]
	v_cvt_f32_f16_e32 v2, v2
	v_cvt_f32_f16_e32 v3, v3
	;; [unrolled: 1-line block ×8, first 2 shown]
	v_dual_add_f32 v21, v13, v2 :: v_dual_and_b32 v10, 1, v0
	v_and_b32_e32 v11, 2, v0
	v_and_b32_e32 v12, 4, v0
	;; [unrolled: 1-line block ×3, first 2 shown]
	v_dual_sub_f32 v2, v13, v2 :: v_dual_add_f32 v13, v14, v3
	v_dual_sub_f32 v3, v14, v3 :: v_dual_add_f32 v14, v15, v4
	;; [unrolled: 1-line block ×7, first 2 shown]
	v_sub_f32_e32 v9, v20, v9
	v_add_f32_e32 v20, v21, v13
	v_sub_f32_e32 v13, v21, v13
	v_add_f32_e32 v21, v2, v3
	;; [unrolled: 2-line block ×3, first 2 shown]
	v_dual_sub_f32 v14, v14, v15 :: v_dual_add_f32 v15, v4, v5
	v_sub_f32_e32 v4, v4, v5
	v_add_f32_e32 v5, v16, v17
	v_dual_sub_f32 v16, v16, v17 :: v_dual_add_f32 v17, v6, v7
	v_sub_f32_e32 v6, v6, v7
	v_add_f32_e32 v7, v18, v19
	;; [unrolled: 3-line block ×3, first 2 shown]
	v_sub_f32_e32 v3, v20, v3
	v_add_f32_e32 v20, v21, v15
	v_sub_f32_e32 v15, v21, v15
	v_add_f32_e32 v21, v13, v14
	v_dual_sub_f32 v13, v13, v14 :: v_dual_add_f32 v14, v2, v4
	v_sub_f32_e32 v2, v2, v4
	v_add_f32_e32 v4, v5, v7
	v_sub_f32_e32 v5, v5, v7
	v_add_f32_e32 v7, v17, v19
	;; [unrolled: 2-line block ×5, first 2 shown]
	v_dual_sub_f32 v4, v9, v4 :: v_dual_add_f32 v9, v20, v7
	v_sub_f32_e32 v7, v20, v7
	v_add_f32_e32 v20, v21, v19
	v_sub_f32_e32 v19, v21, v19
	v_add_f32_e32 v21, v14, v18
	;; [unrolled: 2-line block ×3, first 2 shown]
	v_sub_f32_dpp v22, v9, v9 quad_perm:[1,0,3,2] row_mask:0xf bank_mask:0xf bound_ctrl:1
	v_add_f32_dpp v9, v9, v9 quad_perm:[1,0,3,2] row_mask:0xf bank_mask:0xf bound_ctrl:1
	v_sub_f32_dpp v24, v21, v21 quad_perm:[1,0,3,2] row_mask:0xf bank_mask:0xf bound_ctrl:1
	v_add_f32_dpp v21, v21, v21 quad_perm:[1,0,3,2] row_mask:0xf bank_mask:0xf bound_ctrl:1
	;; [unrolled: 2-line block ×3, first 2 shown]
	v_cmp_eq_u32_e32 vcc_lo, 0, v10
	v_sub_f32_e32 v3, v3, v5
	v_add_f32_e32 v5, v15, v17
	v_sub_f32_e32 v15, v15, v17
	v_add_f32_e32 v17, v13, v16
	v_dual_sub_f32 v13, v13, v16 :: v_dual_add_f32 v16, v2, v6
	v_sub_f32_e32 v2, v2, v6
	v_sub_f32_dpp v6, v8, v8 quad_perm:[1,0,3,2] row_mask:0xf bank_mask:0xf bound_ctrl:1
	v_add_f32_dpp v8, v8, v8 quad_perm:[1,0,3,2] row_mask:0xf bank_mask:0xf bound_ctrl:1
	v_sub_f32_dpp v23, v20, v20 quad_perm:[1,0,3,2] row_mask:0xf bank_mask:0xf bound_ctrl:1
	v_add_f32_dpp v20, v20, v20 quad_perm:[1,0,3,2] row_mask:0xf bank_mask:0xf bound_ctrl:1
	;; [unrolled: 2-line block ×7, first 2 shown]
	v_cndmask_b32_e32 v6, v6, v8, vcc_lo
	v_sub_f32_dpp v33, v3, v3 quad_perm:[1,0,3,2] row_mask:0xf bank_mask:0xf bound_ctrl:1
	v_add_f32_dpp v3, v3, v3 quad_perm:[1,0,3,2] row_mask:0xf bank_mask:0xf bound_ctrl:1
	v_cndmask_b32_e32 v8, v22, v9, vcc_lo
	v_sub_f32_dpp v27, v17, v17 quad_perm:[1,0,3,2] row_mask:0xf bank_mask:0xf bound_ctrl:1
	v_add_f32_dpp v17, v17, v17 quad_perm:[1,0,3,2] row_mask:0xf bank_mask:0xf bound_ctrl:1
	v_dual_cndmask_b32 v9, v23, v20 :: v_dual_cndmask_b32 v14, v32, v14
	v_cndmask_b32_e32 v20, v24, v21, vcc_lo
	v_sub_f32_dpp v35, v13, v13 quad_perm:[1,0,3,2] row_mask:0xf bank_mask:0xf bound_ctrl:1
	v_add_f32_dpp v10, v13, v13 quad_perm:[1,0,3,2] row_mask:0xf bank_mask:0xf bound_ctrl:1
	v_sub_f32_dpp v13, v2, v2 quad_perm:[1,0,3,2] row_mask:0xf bank_mask:0xf bound_ctrl:1
	v_add_f32_dpp v2, v2, v2 quad_perm:[1,0,3,2] row_mask:0xf bank_mask:0xf bound_ctrl:1
	v_cndmask_b32_e32 v18, v25, v18, vcc_lo
	v_sub_f32_dpp v26, v5, v5 quad_perm:[1,0,3,2] row_mask:0xf bank_mask:0xf bound_ctrl:1
	v_add_f32_dpp v5, v5, v5 quad_perm:[1,0,3,2] row_mask:0xf bank_mask:0xf bound_ctrl:1
	v_cndmask_b32_e32 v16, v28, v16, vcc_lo
	v_sub_f32_dpp v34, v15, v15 quad_perm:[1,0,3,2] row_mask:0xf bank_mask:0xf bound_ctrl:1
	v_add_f32_dpp v15, v15, v15 quad_perm:[1,0,3,2] row_mask:0xf bank_mask:0xf bound_ctrl:1
	v_dual_cndmask_b32 v17, v27, v17 :: v_dual_cndmask_b32 v2, v13, v2
	v_dual_cndmask_b32 v5, v26, v5 :: v_dual_cndmask_b32 v4, v29, v4
	;; [unrolled: 1-line block ×3, first 2 shown]
	v_sub_f32_dpp v13, v6, v6 quad_perm:[2,3,0,1] row_mask:0xf bank_mask:0xf bound_ctrl:1
	v_add_f32_dpp v6, v6, v6 quad_perm:[2,3,0,1] row_mask:0xf bank_mask:0xf bound_ctrl:1
	v_cndmask_b32_e32 v19, v31, v19, vcc_lo
	v_sub_f32_dpp v21, v8, v8 quad_perm:[2,3,0,1] row_mask:0xf bank_mask:0xf bound_ctrl:1
	v_add_f32_dpp v8, v8, v8 quad_perm:[2,3,0,1] row_mask:0xf bank_mask:0xf bound_ctrl:1
	v_cndmask_b32_e32 v15, v34, v15, vcc_lo
	v_sub_f32_dpp v22, v9, v9 quad_perm:[2,3,0,1] row_mask:0xf bank_mask:0xf bound_ctrl:1
	v_add_f32_dpp v9, v9, v9 quad_perm:[2,3,0,1] row_mask:0xf bank_mask:0xf bound_ctrl:1
	v_sub_f32_dpp v23, v20, v20 quad_perm:[2,3,0,1] row_mask:0xf bank_mask:0xf bound_ctrl:1
	v_add_f32_dpp v20, v20, v20 quad_perm:[2,3,0,1] row_mask:0xf bank_mask:0xf bound_ctrl:1
	;; [unrolled: 2-line block ×3, first 2 shown]
	v_cndmask_b32_e32 v3, v33, v3, vcc_lo
	v_cmp_eq_u32_e32 vcc_lo, 0, v11
	v_sub_f32_dpp v25, v5, v5 quad_perm:[2,3,0,1] row_mask:0xf bank_mask:0xf bound_ctrl:1
	v_add_f32_dpp v5, v5, v5 quad_perm:[2,3,0,1] row_mask:0xf bank_mask:0xf bound_ctrl:1
	v_sub_f32_dpp v26, v17, v17 quad_perm:[2,3,0,1] row_mask:0xf bank_mask:0xf bound_ctrl:1
	v_add_f32_dpp v17, v17, v17 quad_perm:[2,3,0,1] row_mask:0xf bank_mask:0xf bound_ctrl:1
	v_cndmask_b32_e32 v18, v24, v18, vcc_lo
	v_sub_f32_dpp v27, v16, v16 quad_perm:[2,3,0,1] row_mask:0xf bank_mask:0xf bound_ctrl:1
	v_add_f32_dpp v16, v16, v16 quad_perm:[2,3,0,1] row_mask:0xf bank_mask:0xf bound_ctrl:1
	v_sub_f32_dpp v28, v4, v4 quad_perm:[2,3,0,1] row_mask:0xf bank_mask:0xf bound_ctrl:1
	v_add_f32_dpp v4, v4, v4 quad_perm:[2,3,0,1] row_mask:0xf bank_mask:0xf bound_ctrl:1
	;; [unrolled: 2-line block ×5, first 2 shown]
	v_cndmask_b32_e32 v6, v13, v6, vcc_lo
	v_dual_cndmask_b32 v8, v21, v8 :: v_dual_cndmask_b32 v9, v22, v9
	v_cndmask_b32_e32 v16, v27, v16, vcc_lo
	v_dual_cndmask_b32 v13, v23, v20 :: v_dual_cndmask_b32 v10, v34, v10
	v_sub_f32_dpp v30, v19, v19 quad_perm:[2,3,0,1] row_mask:0xf bank_mask:0xf bound_ctrl:1
	v_add_f32_dpp v19, v19, v19 quad_perm:[2,3,0,1] row_mask:0xf bank_mask:0xf bound_ctrl:1
	v_sub_f32_dpp v31, v14, v14 quad_perm:[2,3,0,1] row_mask:0xf bank_mask:0xf bound_ctrl:1
	v_add_f32_dpp v14, v14, v14 quad_perm:[2,3,0,1] row_mask:0xf bank_mask:0xf bound_ctrl:1
	v_sub_f32_dpp v32, v3, v3 quad_perm:[2,3,0,1] row_mask:0xf bank_mask:0xf bound_ctrl:1
	v_add_f32_dpp v3, v3, v3 quad_perm:[2,3,0,1] row_mask:0xf bank_mask:0xf bound_ctrl:1
	v_sub_f32_dpp v33, v15, v15 quad_perm:[2,3,0,1] row_mask:0xf bank_mask:0xf bound_ctrl:1
	v_add_f32_dpp v15, v15, v15 quad_perm:[2,3,0,1] row_mask:0xf bank_mask:0xf bound_ctrl:1
	v_dual_cndmask_b32 v5, v25, v5 :: v_dual_cndmask_b32 v4, v28, v4
	v_dual_cndmask_b32 v17, v26, v17 :: v_dual_cndmask_b32 v14, v31, v14
	;; [unrolled: 1-line block ×3, first 2 shown]
	v_mov_b32_dpp v11, v6 row_shl:4 row_mask:0xf bank_mask:0x5 bound_ctrl:1
	v_mov_b32_dpp v20, v8 row_shl:4 row_mask:0xf bank_mask:0x5 bound_ctrl:1
	;; [unrolled: 1-line block ×9, first 2 shown]
	v_mov_b32_dpp v11, v6 row_shr:4 row_mask:0xf bank_mask:0xa bound_ctrl:1
	v_mov_b32_dpp v20, v8 row_shr:4 row_mask:0xf bank_mask:0xa bound_ctrl:1
	v_cndmask_b32_e32 v19, v30, v19, vcc_lo
	v_mov_b32_dpp v21, v9 row_shr:4 row_mask:0xf bank_mask:0xa bound_ctrl:1
	v_cndmask_b32_e32 v3, v32, v3, vcc_lo
	v_mov_b32_dpp v22, v13 row_shr:4 row_mask:0xf bank_mask:0xa bound_ctrl:1
	v_mov_b32_dpp v23, v18 row_shr:4 row_mask:0xf bank_mask:0xa bound_ctrl:1
	v_cndmask_b32_e32 v15, v33, v15, vcc_lo
	v_mov_b32_dpp v28, v7 row_shl:4 row_mask:0xf bank_mask:0x5 bound_ctrl:1
	v_mov_b32_dpp v30, v14 row_shl:4 row_mask:0xf bank_mask:0x5 bound_ctrl:1
	;; [unrolled: 1-line block ×4, first 2 shown]
	v_mov_b32_dpp v24, v5 row_shr:4 row_mask:0xf bank_mask:0xa bound_ctrl:1
	v_mov_b32_dpp v25, v17 row_shr:4 row_mask:0xf bank_mask:0xa bound_ctrl:1
	;; [unrolled: 1-line block ×4, first 2 shown]
	v_dual_sub_f32 v35, v11, v6 :: v_dual_add_f32 v6, v6, v11
	v_sub_f32_e32 v11, v20, v8
	v_add_f32_e32 v8, v8, v20
	v_mov_b32_dpp v29, v19 row_shl:4 row_mask:0xf bank_mask:0x5 bound_ctrl:1
	v_sub_f32_e32 v20, v21, v9
	v_mov_b32_dpp v31, v3 row_shl:4 row_mask:0xf bank_mask:0x5 bound_ctrl:1
	v_add_f32_e32 v9, v9, v21
	v_sub_f32_e32 v21, v22, v13
	v_add_f32_e32 v13, v13, v22
	v_sub_f32_e32 v22, v23, v18
	v_mov_b32_dpp v32, v15 row_shl:4 row_mask:0xf bank_mask:0x5 bound_ctrl:1
	v_mov_b32_dpp v28, v7 row_shr:4 row_mask:0xf bank_mask:0xa bound_ctrl:1
	v_mov_b32_dpp v29, v19 row_shr:4 row_mask:0xf bank_mask:0xa bound_ctrl:1
	v_mov_b32_dpp v30, v14 row_shr:4 row_mask:0xf bank_mask:0xa bound_ctrl:1
	v_mov_b32_dpp v31, v3 row_shr:4 row_mask:0xf bank_mask:0xa bound_ctrl:1
	v_mov_b32_dpp v32, v15 row_shr:4 row_mask:0xf bank_mask:0xa bound_ctrl:1
	v_mov_b32_dpp v33, v10 row_shr:4 row_mask:0xf bank_mask:0xa bound_ctrl:1
	v_mov_b32_dpp v34, v2 row_shr:4 row_mask:0xf bank_mask:0xa bound_ctrl:1
	v_dual_add_f32 v18, v18, v23 :: v_dual_sub_f32 v23, v24, v5
	v_add_f32_e32 v5, v5, v24
	v_sub_f32_e32 v24, v25, v17
	v_add_f32_e32 v17, v17, v25
	v_dual_sub_f32 v25, v26, v16 :: v_dual_add_f32 v16, v16, v26
	v_cmp_eq_u32_e32 vcc_lo, 0, v12
	v_sub_f32_e32 v26, v27, v4
	v_add_f32_e32 v4, v4, v27
	v_sub_f32_e32 v27, v28, v7
	v_dual_add_f32 v7, v7, v28 :: v_dual_sub_f32 v28, v29, v19
	v_dual_add_f32 v19, v19, v29 :: v_dual_sub_f32 v12, v34, v2
	v_dual_sub_f32 v29, v30, v14 :: v_dual_cndmask_b32 v8, v11, v8
	v_add_f32_e32 v14, v14, v30
	v_sub_f32_e32 v30, v31, v3
	v_dual_add_f32 v3, v3, v31 :: v_dual_add_f32 v2, v2, v34
	v_dual_sub_f32 v31, v32, v15 :: v_dual_cndmask_b32 v6, v35, v6
	v_dual_add_f32 v15, v15, v32 :: v_dual_sub_f32 v32, v33, v10
	v_add_f32_e32 v10, v10, v33
	v_dual_cndmask_b32 v9, v20, v9 :: v_dual_cndmask_b32 v16, v25, v16
	v_dual_cndmask_b32 v11, v21, v13 :: v_dual_cndmask_b32 v4, v26, v4
	v_cndmask_b32_e32 v13, v22, v18, vcc_lo
	v_dual_cndmask_b32 v5, v23, v5 :: v_dual_cndmask_b32 v14, v29, v14
	v_dual_cndmask_b32 v7, v27, v7 :: v_dual_cndmask_b32 v10, v32, v10
	v_cndmask_b32_e32 v18, v28, v19, vcc_lo
	v_dual_cndmask_b32 v3, v30, v3 :: v_dual_cndmask_b32 v2, v12, v2
	v_sub_f32_dpp v12, v6, v6 row_ror:8 row_mask:0xf bank_mask:0xf bound_ctrl:1
	v_add_f32_dpp v6, v6, v6 row_ror:8 row_mask:0xf bank_mask:0xf bound_ctrl:1
	v_cndmask_b32_e32 v15, v31, v15, vcc_lo
	v_sub_f32_dpp v19, v8, v8 row_ror:8 row_mask:0xf bank_mask:0xf bound_ctrl:1
	v_add_f32_dpp v8, v8, v8 row_ror:8 row_mask:0xf bank_mask:0xf bound_ctrl:1
	v_sub_f32_dpp v25, v16, v16 row_ror:8 row_mask:0xf bank_mask:0xf bound_ctrl:1
	v_add_f32_dpp v16, v16, v16 row_ror:8 row_mask:0xf bank_mask:0xf bound_ctrl:1
	v_cndmask_b32_e32 v17, v24, v17, vcc_lo
	v_cmp_eq_u32_e32 vcc_lo, 0, v0
	v_sub_f32_dpp v20, v9, v9 row_ror:8 row_mask:0xf bank_mask:0xf bound_ctrl:1
	v_add_f32_dpp v9, v9, v9 row_ror:8 row_mask:0xf bank_mask:0xf bound_ctrl:1
	v_sub_f32_dpp v23, v5, v5 row_ror:8 row_mask:0xf bank_mask:0xf bound_ctrl:1
	v_add_f32_dpp v5, v5, v5 row_ror:8 row_mask:0xf bank_mask:0xf bound_ctrl:1
	v_cndmask_b32_e32 v16, v25, v16, vcc_lo
	v_sub_f32_dpp v24, v17, v17 row_ror:8 row_mask:0xf bank_mask:0xf bound_ctrl:1
	v_add_f32_dpp v17, v17, v17 row_ror:8 row_mask:0xf bank_mask:0xf bound_ctrl:1
	v_sub_f32_dpp v26, v4, v4 row_ror:8 row_mask:0xf bank_mask:0xf bound_ctrl:1
	v_add_f32_dpp v4, v4, v4 row_ror:8 row_mask:0xf bank_mask:0xf bound_ctrl:1
	;; [unrolled: 2-line block ×6, first 2 shown]
	v_cndmask_b32_e32 v6, v12, v6, vcc_lo
	v_cndmask_b32_e32 v12, v19, v8, vcc_lo
	v_sub_f32_dpp v22, v13, v13 row_ror:8 row_mask:0xf bank_mask:0xf bound_ctrl:1
	v_add_f32_dpp v13, v13, v13 row_ror:8 row_mask:0xf bank_mask:0xf bound_ctrl:1
	v_sub_f32_dpp v21, v11, v11 row_ror:8 row_mask:0xf bank_mask:0xf bound_ctrl:1
	v_add_f32_dpp v11, v11, v11 row_ror:8 row_mask:0xf bank_mask:0xf bound_ctrl:1
	;; [unrolled: 2-line block ×5, first 2 shown]
	v_dual_cndmask_b32 v8, v20, v9 :: v_dual_cndmask_b32 v11, v21, v11
	v_dual_cndmask_b32 v9, v22, v13 :: v_dual_cndmask_b32 v14, v29, v14
	v_cndmask_b32_e32 v13, v23, v5, vcc_lo
	s_delay_alu instid0(VALU_DEP_4)
	v_dual_cndmask_b32 v5, v24, v17 :: v_dual_cndmask_b32 v10, v10, v2
	v_cndmask_b32_e32 v17, v26, v4, vcc_lo
	v_dual_cndmask_b32 v19, v27, v7 :: v_dual_cndmask_b32 v0, v32, v0
	v_dual_cndmask_b32 v7, v28, v18 :: v_dual_cndmask_b32 v18, v30, v3
	v_cndmask_b32_e32 v15, v31, v15, vcc_lo
	v_fma_mixlo_f16 v2, v6, s1, 0
	v_fma_mixlo_f16 v3, v8, s1, 0
	v_fma_mixlo_f16 v4, v9, s1, 0
	v_fma_mixlo_f16 v5, v5, s1, 0
	v_fma_mixlo_f16 v6, v17, s1, 0
	v_fma_mixlo_f16 v7, v7, s1, 0
	v_fma_mixlo_f16 v8, v18, s1, 0
	v_fma_mixlo_f16 v9, v0, s1, 0
	v_fma_mixhi_f16 v5, v16, s1, 0
	v_fma_mixhi_f16 v4, v13, s1, 0
	v_fma_mixhi_f16 v3, v11, s1, 0
	v_fma_mixhi_f16 v2, v12, s1, 0
	v_fma_mixhi_f16 v9, v10, s1, 0
	v_fma_mixhi_f16 v8, v15, s1, 0
	v_fma_mixhi_f16 v7, v14, s1, 0
	v_fma_mixhi_f16 v6, v19, s1, 0
	s_and_b32 s1, s4, 0xffff
	buffer_store_b128 v[2:5], v1, s[0:3], 0 offen
	;;#ASMSTART
	s_nop 0
	;;#ASMEND
	buffer_store_b128 v[6:9], v1, s[0:3], 16 offen
	;;#ASMSTART
	s_nop 0
	;;#ASMEND
	s_nop 0
	s_sendmsg sendmsg(MSG_DEALLOC_VGPRS)
	s_endpgm
	.section	.rodata,"a",@progbits
	.p2align	6, 0x0
	.amdhsa_kernel _ZN5aiter50hadamard_rotate_activation_fp4quant_inplace_kernelIDF16_Li256ELb0ELi16EEEvPT_PKS1_iii
		.amdhsa_group_segment_fixed_size 0
		.amdhsa_private_segment_fixed_size 0
		.amdhsa_kernarg_size 28
		.amdhsa_user_sgpr_count 15
		.amdhsa_user_sgpr_dispatch_ptr 0
		.amdhsa_user_sgpr_queue_ptr 0
		.amdhsa_user_sgpr_kernarg_segment_ptr 1
		.amdhsa_user_sgpr_dispatch_id 0
		.amdhsa_user_sgpr_private_segment_size 0
		.amdhsa_wavefront_size32 1
		.amdhsa_uses_dynamic_stack 0
		.amdhsa_enable_private_segment 0
		.amdhsa_system_sgpr_workgroup_id_x 1
		.amdhsa_system_sgpr_workgroup_id_y 0
		.amdhsa_system_sgpr_workgroup_id_z 0
		.amdhsa_system_sgpr_workgroup_info 0
		.amdhsa_system_vgpr_workitem_id 0
		.amdhsa_next_free_vgpr 36
		.amdhsa_next_free_sgpr 16
		.amdhsa_reserve_vcc 1
		.amdhsa_float_round_mode_32 0
		.amdhsa_float_round_mode_16_64 0
		.amdhsa_float_denorm_mode_32 3
		.amdhsa_float_denorm_mode_16_64 3
		.amdhsa_dx10_clamp 1
		.amdhsa_ieee_mode 1
		.amdhsa_fp16_overflow 0
		.amdhsa_workgroup_processor_mode 1
		.amdhsa_memory_ordered 1
		.amdhsa_forward_progress 0
		.amdhsa_shared_vgpr_count 0
		.amdhsa_exception_fp_ieee_invalid_op 0
		.amdhsa_exception_fp_denorm_src 0
		.amdhsa_exception_fp_ieee_div_zero 0
		.amdhsa_exception_fp_ieee_overflow 0
		.amdhsa_exception_fp_ieee_underflow 0
		.amdhsa_exception_fp_ieee_inexact 0
		.amdhsa_exception_int_div_zero 0
	.end_amdhsa_kernel
	.section	.text._ZN5aiter50hadamard_rotate_activation_fp4quant_inplace_kernelIDF16_Li256ELb0ELi16EEEvPT_PKS1_iii,"axG",@progbits,_ZN5aiter50hadamard_rotate_activation_fp4quant_inplace_kernelIDF16_Li256ELb0ELi16EEEvPT_PKS1_iii,comdat
.Lfunc_end11:
	.size	_ZN5aiter50hadamard_rotate_activation_fp4quant_inplace_kernelIDF16_Li256ELb0ELi16EEEvPT_PKS1_iii, .Lfunc_end11-_ZN5aiter50hadamard_rotate_activation_fp4quant_inplace_kernelIDF16_Li256ELb0ELi16EEEvPT_PKS1_iii
                                        ; -- End function
	.section	.AMDGPU.csdata,"",@progbits
; Kernel info:
; codeLenInByte = 2132
; NumSgprs: 18
; NumVgprs: 36
; ScratchSize: 0
; MemoryBound: 0
; FloatMode: 240
; IeeeMode: 1
; LDSByteSize: 0 bytes/workgroup (compile time only)
; SGPRBlocks: 2
; VGPRBlocks: 4
; NumSGPRsForWavesPerEU: 18
; NumVGPRsForWavesPerEU: 36
; Occupancy: 16
; WaveLimiterHint : 0
; COMPUTE_PGM_RSRC2:SCRATCH_EN: 0
; COMPUTE_PGM_RSRC2:USER_SGPR: 15
; COMPUTE_PGM_RSRC2:TRAP_HANDLER: 0
; COMPUTE_PGM_RSRC2:TGID_X_EN: 1
; COMPUTE_PGM_RSRC2:TGID_Y_EN: 0
; COMPUTE_PGM_RSRC2:TGID_Z_EN: 0
; COMPUTE_PGM_RSRC2:TIDIG_COMP_CNT: 0
	.section	.text._ZN5aiter50hadamard_rotate_activation_fp4quant_inplace_kernelItLi256ELb0ELi16EEEvPT_PKS1_iii,"axG",@progbits,_ZN5aiter50hadamard_rotate_activation_fp4quant_inplace_kernelItLi256ELb0ELi16EEEvPT_PKS1_iii,comdat
	.protected	_ZN5aiter50hadamard_rotate_activation_fp4quant_inplace_kernelItLi256ELb0ELi16EEEvPT_PKS1_iii ; -- Begin function _ZN5aiter50hadamard_rotate_activation_fp4quant_inplace_kernelItLi256ELb0ELi16EEEvPT_PKS1_iii
	.globl	_ZN5aiter50hadamard_rotate_activation_fp4quant_inplace_kernelItLi256ELb0ELi16EEEvPT_PKS1_iii
	.p2align	8
	.type	_ZN5aiter50hadamard_rotate_activation_fp4quant_inplace_kernelItLi256ELb0ELi16EEEvPT_PKS1_iii,@function
_ZN5aiter50hadamard_rotate_activation_fp4quant_inplace_kernelItLi256ELb0ELi16EEEvPT_PKS1_iii: ; @_ZN5aiter50hadamard_rotate_activation_fp4quant_inplace_kernelItLi256ELb0ELi16EEEvPT_PKS1_iii
; %bb.0:
	s_clause 0x1
	s_load_b64 s[10:11], s[0:1], 0x10
	s_load_b128 s[4:7], s[0:1], 0x0
	s_lshl_b32 s0, s15, 1
	s_mov_b32 s1, 0
	v_lshlrev_b32_e32 v9, 5, v0
	s_mov_b32 s3, -1
	s_waitcnt lgkmcnt(0)
	s_sub_i32 s2, s10, s0
	s_cmp_lt_u32 s10, s0
	s_mul_i32 s0, s0, s11
	s_cselect_b32 s10, s2, 2
	s_lshl_b64 s[8:9], s[0:1], 1
	s_mul_i32 s1, s11, s10
	s_add_u32 s0, s6, s8
	s_addc_u32 s6, s7, s9
	s_lshl_b32 s2, s1, 1
	s_and_b32 s1, s6, 0xffff
	s_clause 0x1
	buffer_load_b128 v[5:8], v9, s[0:3], 16 offen
	buffer_load_b128 v[1:4], v9, s[0:3], 0 offen
	s_add_u32 s0, s4, s8
	s_addc_u32 s1, s5, s9
	s_lshl_b32 s2, s10, 9
	s_and_b32 s1, s1, 0xffff
	s_waitcnt vmcnt(1)
	v_and_b32_e32 v17, 0xffff, v7
	v_lshrrev_b32_e32 v7, 16, v7
	s_waitcnt vmcnt(0)
	v_and_b32_e32 v20, 0xffff, v4
	v_lshrrev_b32_e32 v4, 16, v4
	v_cvt_f32_u32_e32 v17, v17
	v_cvt_f32_u32_e32 v7, v7
	v_and_b32_e32 v15, 0xffff, v6
	v_lshrrev_b32_e32 v6, 16, v6
	v_cvt_f32_u32_e32 v20, v20
	v_cvt_f32_u32_e32 v4, v4
	v_and_b32_e32 v13, 0xffff, v5
	v_cvt_f32_u32_e32 v15, v15
	v_cvt_f32_u32_e32 v6, v6
	v_and_b32_e32 v14, 0xffff, v1
	v_lshrrev_b32_e32 v1, 16, v1
	v_lshrrev_b32_e32 v5, 16, v5
	v_sub_f32_e32 v24, v20, v4
	v_cvt_f32_u32_e32 v13, v13
	v_cvt_f32_u32_e32 v14, v14
	;; [unrolled: 1-line block ×3, first 2 shown]
	v_and_b32_e32 v16, 0xffff, v2
	v_lshrrev_b32_e32 v2, 16, v2
	v_and_b32_e32 v12, 2, v0
	v_cvt_f32_u32_e32 v5, v5
	v_dual_sub_f32 v21, v14, v1 :: v_dual_and_b32 v18, 0xffff, v3
	v_lshrrev_b32_e32 v3, 16, v3
	v_cvt_f32_u32_e32 v2, v2
	v_add_f32_e32 v1, v14, v1
	v_cvt_f32_u32_e32 v16, v16
	v_and_b32_e32 v11, 1, v0
	v_cvt_f32_u32_e32 v18, v18
	v_cvt_f32_u32_e32 v3, v3
	v_and_b32_e32 v10, 4, v0
	v_sub_f32_e32 v22, v16, v2
	v_dual_add_f32 v2, v16, v2 :: v_dual_and_b32 v19, 0xffff, v8
	v_lshrrev_b32_e32 v8, 16, v8
	v_sub_f32_e32 v23, v18, v3
	v_add_f32_e32 v14, v17, v7
	s_delay_alu instid0(VALU_DEP_4)
	v_sub_f32_e32 v16, v1, v2
	v_cvt_f32_u32_e32 v19, v19
	v_cvt_f32_u32_e32 v8, v8
	v_add_f32_e32 v3, v18, v3
	v_dual_sub_f32 v7, v17, v7 :: v_dual_add_f32 v4, v20, v4
	v_dual_add_f32 v25, v13, v5 :: v_dual_and_b32 v0, 8, v0
	v_sub_f32_e32 v5, v13, v5
	v_add_f32_e32 v13, v15, v6
	v_sub_f32_e32 v6, v15, v6
	v_dual_add_f32 v15, v19, v8 :: v_dual_sub_f32 v18, v21, v22
	v_dual_sub_f32 v8, v19, v8 :: v_dual_add_f32 v17, v21, v22
	s_delay_alu instid0(VALU_DEP_4)
	v_dual_sub_f32 v19, v3, v4 :: v_dual_add_f32 v22, v25, v13
	v_dual_add_f32 v20, v23, v24 :: v_dual_add_f32 v1, v1, v2
	v_dual_sub_f32 v21, v23, v24 :: v_dual_sub_f32 v2, v25, v13
	v_add_f32_e32 v13, v5, v6
	v_dual_sub_f32 v5, v5, v6 :: v_dual_sub_f32 v6, v14, v15
	v_dual_add_f32 v3, v3, v4 :: v_dual_add_f32 v4, v14, v15
	v_add_f32_e32 v14, v7, v8
	v_add_f32_e32 v15, v17, v20
	v_dual_sub_f32 v17, v17, v20 :: v_dual_add_f32 v20, v16, v19
	s_delay_alu instid0(VALU_DEP_4)
	v_dual_sub_f32 v7, v7, v8 :: v_dual_sub_f32 v8, v1, v3
	v_dual_sub_f32 v16, v16, v19 :: v_dual_add_f32 v19, v18, v21
	v_sub_f32_e32 v18, v18, v21
	v_add_f32_e32 v21, v22, v4
	v_add_f32_e32 v1, v1, v3
	v_dual_sub_f32 v3, v22, v4 :: v_dual_add_f32 v4, v13, v14
	v_sub_f32_e32 v13, v13, v14
	v_add_f32_e32 v14, v2, v6
	v_sub_f32_e32 v2, v2, v6
	v_add_f32_e32 v6, v5, v7
	v_sub_f32_e32 v5, v5, v7
	v_add_f32_e32 v7, v1, v21
	v_sub_f32_e32 v1, v1, v21
	v_add_f32_e32 v21, v15, v4
	v_dual_sub_f32 v4, v15, v4 :: v_dual_add_f32 v15, v20, v14
	v_sub_f32_e32 v14, v20, v14
	v_add_f32_e32 v20, v19, v6
	v_dual_sub_f32 v6, v19, v6 :: v_dual_add_f32 v19, v8, v3
	v_cmp_eq_u32_e32 vcc_lo, 0, v11
	v_dual_sub_f32 v3, v8, v3 :: v_dual_add_f32 v8, v17, v13
	v_sub_f32_e32 v13, v17, v13
	v_sub_f32_dpp v22, v21, v21 quad_perm:[1,0,3,2] row_mask:0xf bank_mask:0xf bound_ctrl:1
	v_add_f32_dpp v21, v21, v21 quad_perm:[1,0,3,2] row_mask:0xf bank_mask:0xf bound_ctrl:1
	v_sub_f32_dpp v24, v20, v20 quad_perm:[1,0,3,2] row_mask:0xf bank_mask:0xf bound_ctrl:1
	v_add_f32_dpp v20, v20, v20 quad_perm:[1,0,3,2] row_mask:0xf bank_mask:0xf bound_ctrl:1
	;; [unrolled: 2-line block ×4, first 2 shown]
	v_add_f32_e32 v17, v16, v2
	v_sub_f32_e32 v2, v16, v2
	v_add_f32_e32 v16, v18, v5
	v_dual_sub_f32 v5, v18, v5 :: v_dual_cndmask_b32 v20, v24, v20
	v_sub_f32_dpp v18, v7, v7 quad_perm:[1,0,3,2] row_mask:0xf bank_mask:0xf bound_ctrl:1
	v_add_f32_dpp v7, v7, v7 quad_perm:[1,0,3,2] row_mask:0xf bank_mask:0xf bound_ctrl:1
	v_sub_f32_dpp v23, v15, v15 quad_perm:[1,0,3,2] row_mask:0xf bank_mask:0xf bound_ctrl:1
	v_add_f32_dpp v15, v15, v15 quad_perm:[1,0,3,2] row_mask:0xf bank_mask:0xf bound_ctrl:1
	;; [unrolled: 2-line block ×10, first 2 shown]
	v_dual_cndmask_b32 v7, v18, v7 :: v_dual_cndmask_b32 v16, v28, v16
	v_cndmask_b32_e32 v18, v22, v21, vcc_lo
	v_sub_f32_dpp v33, v3, v3 quad_perm:[1,0,3,2] row_mask:0xf bank_mask:0xf bound_ctrl:1
	v_add_f32_dpp v3, v3, v3 quad_perm:[1,0,3,2] row_mask:0xf bank_mask:0xf bound_ctrl:1
	v_dual_cndmask_b32 v15, v23, v15 :: v_dual_cndmask_b32 v4, v30, v4
	v_dual_cndmask_b32 v19, v25, v19 :: v_dual_cndmask_b32 v14, v31, v14
	v_cndmask_b32_e32 v8, v26, v8, vcc_lo
	v_sub_f32_dpp v27, v17, v17 quad_perm:[1,0,3,2] row_mask:0xf bank_mask:0xf bound_ctrl:1
	v_add_f32_dpp v17, v17, v17 quad_perm:[1,0,3,2] row_mask:0xf bank_mask:0xf bound_ctrl:1
	v_dual_cndmask_b32 v1, v29, v1 :: v_dual_cndmask_b32 v2, v35, v2
	v_cndmask_b32_e32 v6, v32, v6, vcc_lo
	v_sub_f32_dpp v23, v20, v20 quad_perm:[2,3,0,1] row_mask:0xf bank_mask:0xf bound_ctrl:1
	s_delay_alu instid0(VALU_DEP_4)
	v_cndmask_b32_e32 v17, v27, v17, vcc_lo
	v_add_f32_dpp v20, v20, v20 quad_perm:[2,3,0,1] row_mask:0xf bank_mask:0xf bound_ctrl:1
	v_cndmask_b32_e32 v3, v33, v3, vcc_lo
	v_sub_f32_dpp v25, v8, v8 quad_perm:[2,3,0,1] row_mask:0xf bank_mask:0xf bound_ctrl:1
	v_add_f32_dpp v8, v8, v8 quad_perm:[2,3,0,1] row_mask:0xf bank_mask:0xf bound_ctrl:1
	v_cndmask_b32_e32 v13, v34, v13, vcc_lo
	v_sub_f32_dpp v29, v4, v4 quad_perm:[2,3,0,1] row_mask:0xf bank_mask:0xf bound_ctrl:1
	;; [unrolled: 3-line block ×3, first 2 shown]
	v_add_f32_dpp v7, v7, v7 quad_perm:[2,3,0,1] row_mask:0xf bank_mask:0xf bound_ctrl:1
	v_sub_f32_dpp v30, v14, v14 quad_perm:[2,3,0,1] row_mask:0xf bank_mask:0xf bound_ctrl:1
	v_add_f32_dpp v14, v14, v14 quad_perm:[2,3,0,1] row_mask:0xf bank_mask:0xf bound_ctrl:1
	v_cmp_eq_u32_e32 vcc_lo, 0, v12
	v_sub_f32_dpp v21, v18, v18 quad_perm:[2,3,0,1] row_mask:0xf bank_mask:0xf bound_ctrl:1
	v_add_f32_dpp v18, v18, v18 quad_perm:[2,3,0,1] row_mask:0xf bank_mask:0xf bound_ctrl:1
	v_sub_f32_dpp v22, v15, v15 quad_perm:[2,3,0,1] row_mask:0xf bank_mask:0xf bound_ctrl:1
	v_add_f32_dpp v15, v15, v15 quad_perm:[2,3,0,1] row_mask:0xf bank_mask:0xf bound_ctrl:1
	v_dual_cndmask_b32 v4, v29, v4 :: v_dual_cndmask_b32 v7, v11, v7
	v_cndmask_b32_e32 v14, v30, v14, vcc_lo
	v_sub_f32_dpp v27, v16, v16 quad_perm:[2,3,0,1] row_mask:0xf bank_mask:0xf bound_ctrl:1
	v_add_f32_dpp v16, v16, v16 quad_perm:[2,3,0,1] row_mask:0xf bank_mask:0xf bound_ctrl:1
	v_sub_f32_dpp v31, v6, v6 quad_perm:[2,3,0,1] row_mask:0xf bank_mask:0xf bound_ctrl:1
	v_add_f32_dpp v6, v6, v6 quad_perm:[2,3,0,1] row_mask:0xf bank_mask:0xf bound_ctrl:1
	;; [unrolled: 2-line block ×3, first 2 shown]
	v_dual_cndmask_b32 v11, v21, v18 :: v_dual_cndmask_b32 v16, v27, v16
	s_delay_alu instid0(VALU_DEP_4)
	v_dual_cndmask_b32 v15, v22, v15 :: v_dual_cndmask_b32 v6, v31, v6
	v_mov_b32_dpp v29, v14 row_shl:4 row_mask:0xf bank_mask:0x5 bound_ctrl:1
	v_sub_f32_dpp v24, v19, v19 quad_perm:[2,3,0,1] row_mask:0xf bank_mask:0xf bound_ctrl:1
	v_add_f32_dpp v19, v19, v19 quad_perm:[2,3,0,1] row_mask:0xf bank_mask:0xf bound_ctrl:1
	v_sub_f32_dpp v26, v17, v17 quad_perm:[2,3,0,1] row_mask:0xf bank_mask:0xf bound_ctrl:1
	v_add_f32_dpp v17, v17, v17 quad_perm:[2,3,0,1] row_mask:0xf bank_mask:0xf bound_ctrl:1
	;; [unrolled: 2-line block ×3, first 2 shown]
	v_cndmask_b32_e32 v18, v23, v20, vcc_lo
	v_mov_b32_dpp v20, v11 row_shl:4 row_mask:0xf bank_mask:0x5 bound_ctrl:1
	v_mov_b32_dpp v21, v15 row_shl:4 row_mask:0xf bank_mask:0x5 bound_ctrl:1
	v_mov_b32_dpp v29, v14 row_shr:4 row_mask:0xf bank_mask:0xa bound_ctrl:1
	v_cndmask_b32_e32 v5, v12, v5, vcc_lo
	v_mov_b32_dpp v12, v7 row_shl:4 row_mask:0xf bank_mask:0x5 bound_ctrl:1
	v_sub_f32_dpp v32, v3, v3 quad_perm:[2,3,0,1] row_mask:0xf bank_mask:0xf bound_ctrl:1
	v_add_f32_dpp v3, v3, v3 quad_perm:[2,3,0,1] row_mask:0xf bank_mask:0xf bound_ctrl:1
	v_sub_f32_dpp v34, v2, v2 quad_perm:[2,3,0,1] row_mask:0xf bank_mask:0xf bound_ctrl:1
	v_add_f32_dpp v2, v2, v2 quad_perm:[2,3,0,1] row_mask:0xf bank_mask:0xf bound_ctrl:1
	v_dual_cndmask_b32 v19, v24, v19 :: v_dual_cndmask_b32 v8, v25, v8
	v_mov_b32_dpp v22, v18 row_shl:4 row_mask:0xf bank_mask:0x5 bound_ctrl:1
	v_mov_b32_dpp v12, v7 row_shr:4 row_mask:0xf bank_mask:0xa bound_ctrl:1
	s_delay_alu instid0(VALU_DEP_4)
	v_cndmask_b32_e32 v2, v34, v2, vcc_lo
	v_mov_b32_dpp v20, v11 row_shr:4 row_mask:0xf bank_mask:0xa bound_ctrl:1
	v_cndmask_b32_e32 v17, v26, v17, vcc_lo
	v_mov_b32_dpp v26, v16 row_shl:4 row_mask:0xf bank_mask:0x5 bound_ctrl:1
	v_mov_b32_dpp v21, v15 row_shr:4 row_mask:0xf bank_mask:0xa bound_ctrl:1
	v_cndmask_b32_e32 v1, v28, v1, vcc_lo
	v_sub_f32_dpp v33, v13, v13 quad_perm:[2,3,0,1] row_mask:0xf bank_mask:0xf bound_ctrl:1
	v_add_f32_dpp v13, v13, v13 quad_perm:[2,3,0,1] row_mask:0xf bank_mask:0xf bound_ctrl:1
	v_mov_b32_dpp v23, v19 row_shl:4 row_mask:0xf bank_mask:0x5 bound_ctrl:1
	v_mov_b32_dpp v24, v8 row_shl:4 row_mask:0xf bank_mask:0x5 bound_ctrl:1
	;; [unrolled: 1-line block ×3, first 2 shown]
	v_mov_b32_dpp v22, v18 row_shr:4 row_mask:0xf bank_mask:0xa bound_ctrl:1
	v_cndmask_b32_e32 v3, v32, v3, vcc_lo
	v_mov_b32_dpp v26, v16 row_shr:4 row_mask:0xf bank_mask:0xa bound_ctrl:1
	v_sub_f32_e32 v35, v12, v7
	v_dual_add_f32 v7, v7, v12 :: v_dual_sub_f32 v12, v20, v11
	v_mov_b32_dpp v25, v17 row_shl:4 row_mask:0xf bank_mask:0x5 bound_ctrl:1
	v_dual_add_f32 v11, v11, v20 :: v_dual_sub_f32 v20, v21, v15
	v_mov_b32_dpp v27, v1 row_shl:4 row_mask:0xf bank_mask:0x5 bound_ctrl:1
	v_mov_b32_dpp v30, v6 row_shl:4 row_mask:0xf bank_mask:0x5 bound_ctrl:1
	v_mov_b32_dpp v23, v19 row_shr:4 row_mask:0xf bank_mask:0xa bound_ctrl:1
	v_cndmask_b32_e32 v13, v33, v13, vcc_lo
	v_mov_b32_dpp v33, v2 row_shl:4 row_mask:0xf bank_mask:0x5 bound_ctrl:1
	v_mov_b32_dpp v24, v8 row_shr:4 row_mask:0xf bank_mask:0xa bound_ctrl:1
	v_mov_b32_dpp v25, v17 row_shr:4 row_mask:0xf bank_mask:0xa bound_ctrl:1
	;; [unrolled: 1-line block ×4, first 2 shown]
	v_add_f32_e32 v15, v15, v21
	v_sub_f32_e32 v21, v22, v18
	v_add_f32_e32 v18, v18, v22
	v_mov_b32_dpp v31, v3 row_shl:4 row_mask:0xf bank_mask:0x5 bound_ctrl:1
	v_mov_b32_dpp v30, v6 row_shr:4 row_mask:0xf bank_mask:0xa bound_ctrl:1
	v_mov_b32_dpp v33, v2 row_shr:4 row_mask:0xf bank_mask:0xa bound_ctrl:1
	v_sub_f32_e32 v22, v23, v19
	v_mov_b32_dpp v32, v13 row_shl:4 row_mask:0xf bank_mask:0x5 bound_ctrl:1
	v_mov_b32_dpp v31, v3 row_shr:4 row_mask:0xf bank_mask:0xa bound_ctrl:1
	v_add_f32_e32 v19, v19, v23
	v_sub_f32_e32 v23, v24, v8
	v_add_f32_e32 v8, v8, v24
	v_sub_f32_e32 v24, v25, v17
	v_add_f32_e32 v17, v17, v25
	v_dual_sub_f32 v25, v26, v16 :: v_dual_add_f32 v16, v16, v26
	v_dual_sub_f32 v26, v27, v1 :: v_dual_add_f32 v1, v1, v27
	v_sub_f32_e32 v27, v28, v4
	v_add_f32_e32 v4, v4, v28
	v_sub_f32_e32 v28, v29, v14
	v_mov_b32_dpp v34, v5 row_shl:4 row_mask:0xf bank_mask:0x5 bound_ctrl:1
	v_mov_b32_dpp v32, v13 row_shr:4 row_mask:0xf bank_mask:0xa bound_ctrl:1
	v_cmp_eq_u32_e32 vcc_lo, 0, v10
	v_add_f32_e32 v14, v14, v29
	v_sub_f32_e32 v29, v30, v6
	v_mov_b32_dpp v34, v5 row_shr:4 row_mask:0xf bank_mask:0xa bound_ctrl:1
	v_add_f32_e32 v6, v6, v30
	v_sub_f32_e32 v30, v31, v3
	v_add_f32_e32 v3, v3, v31
	v_sub_f32_e32 v31, v32, v13
	v_dual_add_f32 v13, v13, v32 :: v_dual_cndmask_b32 v14, v28, v14
	v_sub_f32_e32 v32, v33, v2
	v_add_f32_e32 v2, v2, v33
	v_dual_sub_f32 v10, v34, v5 :: v_dual_add_f32 v5, v5, v34
	v_dual_cndmask_b32 v8, v23, v8 :: v_dual_cndmask_b32 v11, v12, v11
	v_cndmask_b32_e32 v4, v27, v4, vcc_lo
	v_cndmask_b32_e32 v12, v20, v15, vcc_lo
	v_dual_cndmask_b32 v7, v35, v7 :: v_dual_cndmask_b32 v6, v29, v6
	v_cndmask_b32_e32 v16, v25, v16, vcc_lo
	v_dual_cndmask_b32 v15, v21, v18 :: v_dual_cndmask_b32 v18, v22, v19
	v_cndmask_b32_e32 v17, v24, v17, vcc_lo
	v_dual_cndmask_b32 v1, v26, v1 :: v_dual_cndmask_b32 v2, v32, v2
	v_sub_f32_dpp v19, v11, v11 row_ror:8 row_mask:0xf bank_mask:0xf bound_ctrl:1
	v_add_f32_dpp v11, v11, v11 row_ror:8 row_mask:0xf bank_mask:0xf bound_ctrl:1
	v_sub_f32_dpp v23, v8, v8 row_ror:8 row_mask:0xf bank_mask:0xf bound_ctrl:1
	v_add_f32_dpp v8, v8, v8 row_ror:8 row_mask:0xf bank_mask:0xf bound_ctrl:1
	v_cndmask_b32_e32 v3, v30, v3, vcc_lo
	v_sub_f32_dpp v25, v16, v16 row_ror:8 row_mask:0xf bank_mask:0xf bound_ctrl:1
	v_add_f32_dpp v16, v16, v16 row_ror:8 row_mask:0xf bank_mask:0xf bound_ctrl:1
	v_cndmask_b32_e32 v13, v31, v13, vcc_lo
	v_sub_f32_dpp v27, v4, v4 row_ror:8 row_mask:0xf bank_mask:0xf bound_ctrl:1
	v_add_f32_dpp v4, v4, v4 row_ror:8 row_mask:0xf bank_mask:0xf bound_ctrl:1
	v_cndmask_b32_e32 v5, v10, v5, vcc_lo
	v_sub_f32_dpp v10, v7, v7 row_ror:8 row_mask:0xf bank_mask:0xf bound_ctrl:1
	v_add_f32_dpp v7, v7, v7 row_ror:8 row_mask:0xf bank_mask:0xf bound_ctrl:1
	v_cmp_eq_u32_e32 vcc_lo, 0, v0
	v_sub_f32_dpp v20, v12, v12 row_ror:8 row_mask:0xf bank_mask:0xf bound_ctrl:1
	v_add_f32_dpp v12, v12, v12 row_ror:8 row_mask:0xf bank_mask:0xf bound_ctrl:1
	v_sub_f32_dpp v28, v14, v14 row_ror:8 row_mask:0xf bank_mask:0xf bound_ctrl:1
	v_add_f32_dpp v14, v14, v14 row_ror:8 row_mask:0xf bank_mask:0xf bound_ctrl:1
	v_dual_cndmask_b32 v4, v27, v4 :: v_dual_cndmask_b32 v7, v10, v7
	v_cndmask_b32_e32 v10, v19, v11, vcc_lo
	v_sub_f32_dpp v21, v15, v15 row_ror:8 row_mask:0xf bank_mask:0xf bound_ctrl:1
	s_delay_alu instid0(VALU_DEP_4)
	v_cndmask_b32_e32 v14, v28, v14, vcc_lo
	v_add_f32_dpp v15, v15, v15 row_ror:8 row_mask:0xf bank_mask:0xf bound_ctrl:1
	v_sub_f32_dpp v22, v18, v18 row_ror:8 row_mask:0xf bank_mask:0xf bound_ctrl:1
	v_add_f32_dpp v18, v18, v18 row_ror:8 row_mask:0xf bank_mask:0xf bound_ctrl:1
	v_sub_f32_dpp v26, v1, v1 row_ror:8 row_mask:0xf bank_mask:0xf bound_ctrl:1
	;; [unrolled: 2-line block ×5, first 2 shown]
	v_add_f32_dpp v5, v5, v5 row_ror:8 row_mask:0xf bank_mask:0xf bound_ctrl:1
	v_dual_cndmask_b32 v11, v20, v12 :: v_dual_cndmask_b32 v6, v29, v6
	v_cndmask_b32_e32 v12, v21, v15, vcc_lo
	v_sub_f32_dpp v24, v17, v17 row_ror:8 row_mask:0xf bank_mask:0xf bound_ctrl:1
	v_add_f32_dpp v17, v17, v17 row_ror:8 row_mask:0xf bank_mask:0xf bound_ctrl:1
	v_cndmask_b32_e32 v8, v23, v8, vcc_lo
	v_sub_f32_dpp v30, v3, v3 row_ror:8 row_mask:0xf bank_mask:0xf bound_ctrl:1
	v_add_f32_dpp v3, v3, v3 row_ror:8 row_mask:0xf bank_mask:0xf bound_ctrl:1
	;; [unrolled: 3-line block ×3, first 2 shown]
	v_dual_cndmask_b32 v15, v22, v18 :: v_dual_cndmask_b32 v0, v32, v0
	v_cndmask_b32_e32 v17, v24, v17, vcc_lo
	v_cndmask_b32_e32 v1, v26, v1, vcc_lo
	v_dual_cndmask_b32 v3, v30, v3 :: v_dual_mul_f32 v8, 0x3d800000, v8
	v_dual_cndmask_b32 v13, v31, v13 :: v_dual_mul_f32 v16, 0x3d800000, v16
	;; [unrolled: 1-line block ×3, first 2 shown]
	v_dual_mul_f32 v7, 0x3d800000, v10 :: v_dual_mul_f32 v4, 0x3d800000, v4
	v_dual_mul_f32 v10, 0x3d800000, v11 :: v_dual_mul_f32 v11, 0x3d800000, v12
	v_mul_f32_e32 v14, 0x3d800000, v14
	v_dual_mul_f32 v12, 0x3d800000, v15 :: v_dual_mul_f32 v15, 0x3d800000, v17
	v_dual_mul_f32 v18, 0x3d800000, v6 :: v_dual_mul_f32 v17, 0x3d800000, v1
	;; [unrolled: 1-line block ×4, first 2 shown]
	s_delay_alu instid0(VALU_DEP_4)
	v_perm_b32 v3, v16, v15, 0x7060302
	v_perm_b32 v2, v8, v12, 0x7060302
	;; [unrolled: 1-line block ×8, first 2 shown]
	buffer_store_b128 v[0:3], v9, s[0:3], 0 offen
	;;#ASMSTART
	s_nop 0
	;;#ASMEND
	buffer_store_b128 v[4:7], v9, s[0:3], 16 offen
	;;#ASMSTART
	s_nop 0
	;;#ASMEND
	s_nop 0
	s_sendmsg sendmsg(MSG_DEALLOC_VGPRS)
	s_endpgm
	.section	.rodata,"a",@progbits
	.p2align	6, 0x0
	.amdhsa_kernel _ZN5aiter50hadamard_rotate_activation_fp4quant_inplace_kernelItLi256ELb0ELi16EEEvPT_PKS1_iii
		.amdhsa_group_segment_fixed_size 0
		.amdhsa_private_segment_fixed_size 0
		.amdhsa_kernarg_size 28
		.amdhsa_user_sgpr_count 15
		.amdhsa_user_sgpr_dispatch_ptr 0
		.amdhsa_user_sgpr_queue_ptr 0
		.amdhsa_user_sgpr_kernarg_segment_ptr 1
		.amdhsa_user_sgpr_dispatch_id 0
		.amdhsa_user_sgpr_private_segment_size 0
		.amdhsa_wavefront_size32 1
		.amdhsa_uses_dynamic_stack 0
		.amdhsa_enable_private_segment 0
		.amdhsa_system_sgpr_workgroup_id_x 1
		.amdhsa_system_sgpr_workgroup_id_y 0
		.amdhsa_system_sgpr_workgroup_id_z 0
		.amdhsa_system_sgpr_workgroup_info 0
		.amdhsa_system_vgpr_workitem_id 0
		.amdhsa_next_free_vgpr 36
		.amdhsa_next_free_sgpr 16
		.amdhsa_reserve_vcc 1
		.amdhsa_float_round_mode_32 0
		.amdhsa_float_round_mode_16_64 0
		.amdhsa_float_denorm_mode_32 3
		.amdhsa_float_denorm_mode_16_64 3
		.amdhsa_dx10_clamp 1
		.amdhsa_ieee_mode 1
		.amdhsa_fp16_overflow 0
		.amdhsa_workgroup_processor_mode 1
		.amdhsa_memory_ordered 1
		.amdhsa_forward_progress 0
		.amdhsa_shared_vgpr_count 0
		.amdhsa_exception_fp_ieee_invalid_op 0
		.amdhsa_exception_fp_denorm_src 0
		.amdhsa_exception_fp_ieee_div_zero 0
		.amdhsa_exception_fp_ieee_overflow 0
		.amdhsa_exception_fp_ieee_underflow 0
		.amdhsa_exception_fp_ieee_inexact 0
		.amdhsa_exception_int_div_zero 0
	.end_amdhsa_kernel
	.section	.text._ZN5aiter50hadamard_rotate_activation_fp4quant_inplace_kernelItLi256ELb0ELi16EEEvPT_PKS1_iii,"axG",@progbits,_ZN5aiter50hadamard_rotate_activation_fp4quant_inplace_kernelItLi256ELb0ELi16EEEvPT_PKS1_iii,comdat
.Lfunc_end12:
	.size	_ZN5aiter50hadamard_rotate_activation_fp4quant_inplace_kernelItLi256ELb0ELi16EEEvPT_PKS1_iii, .Lfunc_end12-_ZN5aiter50hadamard_rotate_activation_fp4quant_inplace_kernelItLi256ELb0ELi16EEEvPT_PKS1_iii
                                        ; -- End function
	.section	.AMDGPU.csdata,"",@progbits
; Kernel info:
; codeLenInByte = 2288
; NumSgprs: 18
; NumVgprs: 36
; ScratchSize: 0
; MemoryBound: 0
; FloatMode: 240
; IeeeMode: 1
; LDSByteSize: 0 bytes/workgroup (compile time only)
; SGPRBlocks: 2
; VGPRBlocks: 4
; NumSGPRsForWavesPerEU: 18
; NumVGPRsForWavesPerEU: 36
; Occupancy: 16
; WaveLimiterHint : 0
; COMPUTE_PGM_RSRC2:SCRATCH_EN: 0
; COMPUTE_PGM_RSRC2:USER_SGPR: 15
; COMPUTE_PGM_RSRC2:TRAP_HANDLER: 0
; COMPUTE_PGM_RSRC2:TGID_X_EN: 1
; COMPUTE_PGM_RSRC2:TGID_Y_EN: 0
; COMPUTE_PGM_RSRC2:TGID_Z_EN: 0
; COMPUTE_PGM_RSRC2:TIDIG_COMP_CNT: 0
	.section	.text._ZN5aiter50hadamard_rotate_activation_fp4quant_inplace_kernelIDF16_Li512ELb0ELi16EEEvPT_PKS1_iii,"axG",@progbits,_ZN5aiter50hadamard_rotate_activation_fp4quant_inplace_kernelIDF16_Li512ELb0ELi16EEEvPT_PKS1_iii,comdat
	.protected	_ZN5aiter50hadamard_rotate_activation_fp4quant_inplace_kernelIDF16_Li512ELb0ELi16EEEvPT_PKS1_iii ; -- Begin function _ZN5aiter50hadamard_rotate_activation_fp4quant_inplace_kernelIDF16_Li512ELb0ELi16EEEvPT_PKS1_iii
	.globl	_ZN5aiter50hadamard_rotate_activation_fp4quant_inplace_kernelIDF16_Li512ELb0ELi16EEEvPT_PKS1_iii
	.p2align	8
	.type	_ZN5aiter50hadamard_rotate_activation_fp4quant_inplace_kernelIDF16_Li512ELb0ELi16EEEvPT_PKS1_iii,@function
_ZN5aiter50hadamard_rotate_activation_fp4quant_inplace_kernelIDF16_Li512ELb0ELi16EEEvPT_PKS1_iii: ; @_ZN5aiter50hadamard_rotate_activation_fp4quant_inplace_kernelIDF16_Li512ELb0ELi16EEEvPT_PKS1_iii
; %bb.0:
	s_clause 0x1
	s_load_b64 s[10:11], s[0:1], 0x10
	s_load_b128 s[4:7], s[0:1], 0x0
	s_mov_b32 s1, 0
	v_lshlrev_b32_e32 v9, 5, v0
	s_mov_b32 s3, -1
	s_waitcnt lgkmcnt(0)
	s_sub_i32 s2, s10, s15
	s_cmp_lt_u32 s10, s15
	s_mul_i32 s0, s15, s11
	s_cselect_b32 s10, s2, 1
	s_lshl_b64 s[8:9], s[0:1], 1
	s_mul_i32 s1, s11, s10
	s_add_u32 s0, s6, s8
	s_addc_u32 s6, s7, s9
	s_lshl_b32 s2, s1, 1
	s_and_b32 s1, s6, 0xffff
	s_clause 0x1
	buffer_load_b128 v[5:8], v9, s[0:3], 0 offen
	buffer_load_b128 v[1:4], v9, s[0:3], 16 offen
	s_mov_b32 s6, 0x76543210
	s_mov_b32 s1, 0x3d3504f3
	s_add_u32 s0, s4, s8
	s_addc_u32 s4, s5, s9
	s_lshl_b32 s2, s10, 10
	s_waitcnt vmcnt(1)
	v_cvt_f32_f16_e32 v14, v5
	v_lshrrev_b32_e32 v5, 16, v5
	v_cvt_f32_f16_e32 v15, v6
	v_lshrrev_b32_e32 v6, 16, v6
	;; [unrolled: 2-line block ×4, first 2 shown]
	s_waitcnt vmcnt(0)
	v_cvt_f32_f16_e32 v18, v1
	v_lshrrev_b32_e32 v1, 16, v1
	v_cvt_f32_f16_e32 v19, v2
	v_lshrrev_b32_e32 v2, 16, v2
	;; [unrolled: 2-line block ×4, first 2 shown]
	v_cvt_f32_f16_e32 v5, v5
	v_cvt_f32_f16_e32 v6, v6
	;; [unrolled: 1-line block ×5, first 2 shown]
	v_add_f32_e32 v22, v14, v5
	v_cvt_f32_f16_e32 v2, v2
	v_cvt_f32_f16_e32 v3, v3
	;; [unrolled: 1-line block ×3, first 2 shown]
	v_dual_sub_f32 v5, v14, v5 :: v_dual_and_b32 v10, 1, v0
	v_dual_add_f32 v14, v15, v6 :: v_dual_and_b32 v11, 2, v0
	v_and_b32_e32 v12, 4, v0
	v_dual_sub_f32 v6, v15, v6 :: v_dual_and_b32 v13, 8, v0
	v_dual_add_f32 v15, v16, v7 :: v_dual_and_b32 v0, 16, v0
	v_dual_sub_f32 v7, v16, v7 :: v_dual_add_f32 v16, v17, v8
	v_dual_sub_f32 v8, v17, v8 :: v_dual_add_f32 v17, v18, v1
	;; [unrolled: 1-line block ×6, first 2 shown]
	v_sub_f32_e32 v14, v22, v14
	v_add_f32_e32 v22, v5, v6
	v_dual_sub_f32 v5, v5, v6 :: v_dual_add_f32 v6, v15, v16
	v_sub_f32_e32 v15, v15, v16
	v_add_f32_e32 v16, v7, v8
	v_dual_sub_f32 v7, v7, v8 :: v_dual_add_f32 v8, v17, v18
	;; [unrolled: 3-line block ×4, first 2 shown]
	v_dual_sub_f32 v6, v21, v6 :: v_dual_add_f32 v21, v22, v16
	v_sub_f32_e32 v16, v22, v16
	v_add_f32_e32 v22, v14, v15
	v_sub_f32_e32 v14, v14, v15
	v_add_f32_e32 v15, v5, v7
	;; [unrolled: 2-line block ×7, first 2 shown]
	v_dual_sub_f32 v4, v4, v7 :: v_dual_add_f32 v7, v21, v8
	v_sub_f32_e32 v8, v21, v8
	v_add_f32_e32 v21, v22, v20
	v_sub_f32_e32 v20, v22, v20
	v_cmp_eq_u32_e32 vcc_lo, 0, v10
	v_sub_f32_dpp v23, v7, v7 quad_perm:[1,0,3,2] row_mask:0xf bank_mask:0xf bound_ctrl:1
	v_add_f32_dpp v7, v7, v7 quad_perm:[1,0,3,2] row_mask:0xf bank_mask:0xf bound_ctrl:1
	v_sub_f32_dpp v24, v21, v21 quad_perm:[1,0,3,2] row_mask:0xf bank_mask:0xf bound_ctrl:1
	v_add_f32_dpp v21, v21, v21 quad_perm:[1,0,3,2] row_mask:0xf bank_mask:0xf bound_ctrl:1
	v_add_f32_e32 v22, v15, v19
	v_sub_f32_e32 v15, v15, v19
	v_add_f32_e32 v19, v6, v2
	v_sub_f32_e32 v2, v6, v2
	v_add_f32_e32 v6, v16, v18
	v_sub_f32_dpp v30, v4, v4 quad_perm:[1,0,3,2] row_mask:0xf bank_mask:0xf bound_ctrl:1
	v_sub_f32_dpp v33, v15, v15 quad_perm:[1,0,3,2] row_mask:0xf bank_mask:0xf bound_ctrl:1
	;; [unrolled: 1-line block ×3, first 2 shown]
	v_add_f32_dpp v19, v19, v19 quad_perm:[1,0,3,2] row_mask:0xf bank_mask:0xf bound_ctrl:1
	v_sub_f32_e32 v16, v16, v18
	v_add_f32_e32 v18, v14, v17
	v_add_f32_dpp v15, v15, v15 quad_perm:[1,0,3,2] row_mask:0xf bank_mask:0xf bound_ctrl:1
	v_sub_f32_e32 v14, v14, v17
	v_add_f32_e32 v17, v5, v1
	v_sub_f32_e32 v1, v5, v1
	v_sub_f32_dpp v5, v3, v3 quad_perm:[1,0,3,2] row_mask:0xf bank_mask:0xf bound_ctrl:1
	v_cndmask_b32_e32 v15, v33, v15, vcc_lo
	v_add_f32_dpp v3, v3, v3 quad_perm:[1,0,3,2] row_mask:0xf bank_mask:0xf bound_ctrl:1
	v_sub_f32_dpp v29, v17, v17 quad_perm:[1,0,3,2] row_mask:0xf bank_mask:0xf bound_ctrl:1
	v_add_f32_dpp v17, v17, v17 quad_perm:[1,0,3,2] row_mask:0xf bank_mask:0xf bound_ctrl:1
	v_add_f32_dpp v4, v4, v4 quad_perm:[1,0,3,2] row_mask:0xf bank_mask:0xf bound_ctrl:1
	v_sub_f32_dpp v31, v8, v8 quad_perm:[1,0,3,2] row_mask:0xf bank_mask:0xf bound_ctrl:1
	v_cndmask_b32_e32 v3, v5, v3, vcc_lo
	v_cndmask_b32_e32 v5, v23, v7, vcc_lo
	v_sub_f32_dpp v27, v6, v6 quad_perm:[1,0,3,2] row_mask:0xf bank_mask:0xf bound_ctrl:1
	v_add_f32_dpp v6, v6, v6 quad_perm:[1,0,3,2] row_mask:0xf bank_mask:0xf bound_ctrl:1
	v_cndmask_b32_e32 v7, v24, v21, vcc_lo
	v_sub_f32_dpp v25, v22, v22 quad_perm:[1,0,3,2] row_mask:0xf bank_mask:0xf bound_ctrl:1
	v_add_f32_dpp v22, v22, v22 quad_perm:[1,0,3,2] row_mask:0xf bank_mask:0xf bound_ctrl:1
	v_add_f32_dpp v8, v8, v8 quad_perm:[1,0,3,2] row_mask:0xf bank_mask:0xf bound_ctrl:1
	v_sub_f32_dpp v32, v20, v20 quad_perm:[1,0,3,2] row_mask:0xf bank_mask:0xf bound_ctrl:1
	v_add_f32_dpp v20, v20, v20 quad_perm:[1,0,3,2] row_mask:0xf bank_mask:0xf bound_ctrl:1
	v_sub_f32_dpp v34, v2, v2 quad_perm:[1,0,3,2] row_mask:0xf bank_mask:0xf bound_ctrl:1
	;; [unrolled: 2-line block ×4, first 2 shown]
	v_add_f32_dpp v1, v1, v1 quad_perm:[1,0,3,2] row_mask:0xf bank_mask:0xf bound_ctrl:1
	v_cndmask_b32_e32 v21, v25, v22, vcc_lo
	v_sub_f32_dpp v28, v18, v18 quad_perm:[1,0,3,2] row_mask:0xf bank_mask:0xf bound_ctrl:1
	v_add_f32_dpp v18, v18, v18 quad_perm:[1,0,3,2] row_mask:0xf bank_mask:0xf bound_ctrl:1
	v_cndmask_b32_e32 v19, v26, v19, vcc_lo
	v_sub_f32_dpp v35, v16, v16 quad_perm:[1,0,3,2] row_mask:0xf bank_mask:0xf bound_ctrl:1
	v_add_f32_dpp v16, v16, v16 quad_perm:[1,0,3,2] row_mask:0xf bank_mask:0xf bound_ctrl:1
	v_dual_cndmask_b32 v6, v27, v6 :: v_dual_cndmask_b32 v17, v29, v17
	v_dual_cndmask_b32 v18, v28, v18 :: v_dual_cndmask_b32 v1, v14, v1
	v_cndmask_b32_e32 v10, v36, v10, vcc_lo
	v_sub_f32_dpp v14, v3, v3 quad_perm:[2,3,0,1] row_mask:0xf bank_mask:0xf bound_ctrl:1
	v_add_f32_dpp v3, v3, v3 quad_perm:[2,3,0,1] row_mask:0xf bank_mask:0xf bound_ctrl:1
	v_cndmask_b32_e32 v8, v31, v8, vcc_lo
	v_sub_f32_dpp v22, v5, v5 quad_perm:[2,3,0,1] row_mask:0xf bank_mask:0xf bound_ctrl:1
	v_add_f32_dpp v5, v5, v5 quad_perm:[2,3,0,1] row_mask:0xf bank_mask:0xf bound_ctrl:1
	;; [unrolled: 3-line block ×5, first 2 shown]
	v_cndmask_b32_e32 v16, v35, v16, vcc_lo
	v_cmp_eq_u32_e32 vcc_lo, 0, v11
	v_sub_f32_dpp v11, v1, v1 quad_perm:[2,3,0,1] row_mask:0xf bank_mask:0xf bound_ctrl:1
	v_add_f32_dpp v1, v1, v1 quad_perm:[2,3,0,1] row_mask:0xf bank_mask:0xf bound_ctrl:1
	v_sub_f32_dpp v24, v21, v21 quad_perm:[2,3,0,1] row_mask:0xf bank_mask:0xf bound_ctrl:1
	v_add_f32_dpp v21, v21, v21 quad_perm:[2,3,0,1] row_mask:0xf bank_mask:0xf bound_ctrl:1
	v_cndmask_b32_e32 v17, v28, v17, vcc_lo
	v_cndmask_b32_e32 v3, v14, v3, vcc_lo
	;; [unrolled: 1-line block ×5, first 2 shown]
	v_sub_f32_dpp v26, v6, v6 quad_perm:[2,3,0,1] row_mask:0xf bank_mask:0xf bound_ctrl:1
	v_mov_b32_dpp v11, v3 row_shl:4 row_mask:0xf bank_mask:0x5 bound_ctrl:1
	v_add_f32_dpp v6, v6, v6 quad_perm:[2,3,0,1] row_mask:0xf bank_mask:0xf bound_ctrl:1
	v_sub_f32_dpp v27, v18, v18 quad_perm:[2,3,0,1] row_mask:0xf bank_mask:0xf bound_ctrl:1
	v_add_f32_dpp v18, v18, v18 quad_perm:[2,3,0,1] row_mask:0xf bank_mask:0xf bound_ctrl:1
	v_sub_f32_dpp v29, v4, v4 quad_perm:[2,3,0,1] row_mask:0xf bank_mask:0xf bound_ctrl:1
	;; [unrolled: 2-line block ×3, first 2 shown]
	v_add_f32_dpp v8, v8, v8 quad_perm:[2,3,0,1] row_mask:0xf bank_mask:0xf bound_ctrl:1
	v_cndmask_b32_e32 v19, v25, v19, vcc_lo
	v_mov_b32_dpp v22, v7 row_shl:4 row_mask:0xf bank_mask:0x5 bound_ctrl:1
	v_mov_b32_dpp v11, v3 row_shr:4 row_mask:0xf bank_mask:0xa bound_ctrl:1
	v_cndmask_b32_e32 v14, v24, v21, vcc_lo
	v_mov_b32_dpp v21, v5 row_shl:4 row_mask:0xf bank_mask:0x5 bound_ctrl:1
	v_sub_f32_dpp v31, v20, v20 quad_perm:[2,3,0,1] row_mask:0xf bank_mask:0xf bound_ctrl:1
	v_add_f32_dpp v20, v20, v20 quad_perm:[2,3,0,1] row_mask:0xf bank_mask:0xf bound_ctrl:1
	v_sub_f32_dpp v32, v15, v15 quad_perm:[2,3,0,1] row_mask:0xf bank_mask:0xf bound_ctrl:1
	v_add_f32_dpp v15, v15, v15 quad_perm:[2,3,0,1] row_mask:0xf bank_mask:0xf bound_ctrl:1
	v_cndmask_b32_e32 v6, v26, v6, vcc_lo
	v_mov_b32_dpp v24, v19 row_shl:4 row_mask:0xf bank_mask:0x5 bound_ctrl:1
	v_mov_b32_dpp v21, v5 row_shr:4 row_mask:0xf bank_mask:0xa bound_ctrl:1
	v_cndmask_b32_e32 v18, v27, v18, vcc_lo
	v_cndmask_b32_e32 v8, v30, v8, vcc_lo
	v_mov_b32_dpp v22, v7 row_shr:4 row_mask:0xf bank_mask:0xa bound_ctrl:1
	v_cndmask_b32_e32 v4, v29, v4, vcc_lo
	v_sub_f32_e32 v36, v11, v3
	v_add_f32_e32 v3, v3, v11
	v_mov_b32_dpp v23, v14 row_shl:4 row_mask:0xf bank_mask:0x5 bound_ctrl:1
	v_sub_f32_dpp v33, v2, v2 quad_perm:[2,3,0,1] row_mask:0xf bank_mask:0xf bound_ctrl:1
	v_add_f32_dpp v2, v2, v2 quad_perm:[2,3,0,1] row_mask:0xf bank_mask:0xf bound_ctrl:1
	v_sub_f32_dpp v34, v16, v16 quad_perm:[2,3,0,1] row_mask:0xf bank_mask:0xf bound_ctrl:1
	v_add_f32_dpp v16, v16, v16 quad_perm:[2,3,0,1] row_mask:0xf bank_mask:0xf bound_ctrl:1
	;; [unrolled: 2-line block ×3, first 2 shown]
	v_cndmask_b32_e32 v15, v32, v15, vcc_lo
	v_mov_b32_dpp v25, v6 row_shl:4 row_mask:0xf bank_mask:0x5 bound_ctrl:1
	v_mov_b32_dpp v27, v17 row_shl:4 row_mask:0xf bank_mask:0x5 bound_ctrl:1
	v_mov_b32_dpp v23, v14 row_shr:4 row_mask:0xf bank_mask:0xa bound_ctrl:1
	v_mov_b32_dpp v24, v19 row_shr:4 row_mask:0xf bank_mask:0xa bound_ctrl:1
	v_dual_cndmask_b32 v20, v31, v20 :: v_dual_sub_f32 v11, v21, v5
	v_mov_b32_dpp v26, v18 row_shl:4 row_mask:0xf bank_mask:0x5 bound_ctrl:1
	v_add_f32_e32 v5, v5, v21
	v_mov_b32_dpp v29, v8 row_shl:4 row_mask:0xf bank_mask:0x5 bound_ctrl:1
	v_sub_f32_e32 v21, v22, v7
	v_mov_b32_dpp v28, v4 row_shl:4 row_mask:0xf bank_mask:0x5 bound_ctrl:1
	v_cndmask_b32_e32 v2, v33, v2, vcc_lo
	v_dual_cndmask_b32 v16, v34, v16 :: v_dual_add_f32 v7, v7, v22
	v_mov_b32_dpp v31, v15 row_shl:4 row_mask:0xf bank_mask:0x5 bound_ctrl:1
	v_mov_b32_dpp v25, v6 row_shr:4 row_mask:0xf bank_mask:0xa bound_ctrl:1
	v_mov_b32_dpp v26, v18 row_shr:4 row_mask:0xf bank_mask:0xa bound_ctrl:1
	;; [unrolled: 1-line block ×3, first 2 shown]
	v_cndmask_b32_e32 v10, v35, v10, vcc_lo
	v_mov_b32_dpp v35, v1 row_shl:4 row_mask:0xf bank_mask:0x5 bound_ctrl:1
	v_mov_b32_dpp v28, v4 row_shr:4 row_mask:0xf bank_mask:0xa bound_ctrl:1
	v_mov_b32_dpp v29, v8 row_shr:4 row_mask:0xf bank_mask:0xa bound_ctrl:1
	v_sub_f32_e32 v22, v23, v14
	v_add_f32_e32 v14, v14, v23
	v_sub_f32_e32 v23, v24, v19
	v_mov_b32_dpp v30, v20 row_shl:4 row_mask:0xf bank_mask:0x5 bound_ctrl:1
	v_cmp_eq_u32_e32 vcc_lo, 0, v12
	v_mov_b32_dpp v33, v16 row_shl:4 row_mask:0xf bank_mask:0x5 bound_ctrl:1
	v_mov_b32_dpp v31, v15 row_shr:4 row_mask:0xf bank_mask:0xa bound_ctrl:1
	v_mov_b32_dpp v35, v1 row_shr:4 row_mask:0xf bank_mask:0xa bound_ctrl:1
	v_mov_b32_dpp v30, v20 row_shr:4 row_mask:0xf bank_mask:0xa bound_ctrl:1
	v_add_f32_e32 v19, v19, v24
	v_mov_b32_dpp v32, v2 row_shl:4 row_mask:0xf bank_mask:0x5 bound_ctrl:1
	v_sub_f32_e32 v24, v25, v6
	v_add_f32_e32 v6, v6, v25
	v_sub_f32_e32 v25, v26, v18
	v_add_f32_e32 v18, v18, v26
	v_dual_sub_f32 v26, v27, v17 :: v_dual_add_f32 v17, v17, v27
	v_mov_b32_dpp v34, v10 row_shl:4 row_mask:0xf bank_mask:0x5 bound_ctrl:1
	v_sub_f32_e32 v27, v28, v4
	v_dual_add_f32 v4, v4, v28 :: v_dual_cndmask_b32 v5, v11, v5
	v_dual_sub_f32 v28, v29, v8 :: v_dual_cndmask_b32 v3, v36, v3
	v_dual_add_f32 v8, v8, v29 :: v_dual_cndmask_b32 v7, v21, v7
	v_mov_b32_dpp v32, v2 row_shr:4 row_mask:0xf bank_mask:0xa bound_ctrl:1
	v_mov_b32_dpp v33, v16 row_shr:4 row_mask:0xf bank_mask:0xa bound_ctrl:1
	;; [unrolled: 1-line block ×3, first 2 shown]
	v_dual_sub_f32 v29, v30, v20 :: v_dual_add_f32 v20, v20, v30
	v_sub_f32_e32 v30, v31, v15
	v_add_f32_e32 v15, v15, v31
	v_sub_f32_dpp v21, v7, v7 row_ror:8 row_mask:0xf bank_mask:0xf bound_ctrl:1
	v_add_f32_dpp v7, v7, v7 row_ror:8 row_mask:0xf bank_mask:0xf bound_ctrl:1
	v_dual_sub_f32 v12, v35, v1 :: v_dual_add_f32 v1, v1, v35
	v_dual_sub_f32 v31, v32, v2 :: v_dual_add_f32 v2, v2, v32
	v_dual_cndmask_b32 v11, v22, v14 :: v_dual_sub_f32 v32, v33, v16
	v_dual_cndmask_b32 v15, v30, v15 :: v_dual_add_f32 v16, v16, v33
	v_sub_f32_e32 v33, v34, v10
	v_cndmask_b32_e32 v17, v26, v17, vcc_lo
	v_cndmask_b32_e32 v1, v12, v1, vcc_lo
	v_sub_f32_dpp v12, v3, v3 row_ror:8 row_mask:0xf bank_mask:0xf bound_ctrl:1
	v_add_f32_dpp v3, v3, v3 row_ror:8 row_mask:0xf bank_mask:0xf bound_ctrl:1
	v_add_f32_e32 v10, v10, v34
	v_cndmask_b32_e32 v14, v23, v19, vcc_lo
	v_cndmask_b32_e32 v8, v28, v8, vcc_lo
	v_dual_cndmask_b32 v19, v29, v20 :: v_dual_cndmask_b32 v2, v31, v2
	v_cndmask_b32_e32 v16, v32, v16, vcc_lo
	v_cndmask_b32_e32 v10, v33, v10, vcc_lo
	v_sub_f32_dpp v20, v5, v5 row_ror:8 row_mask:0xf bank_mask:0xf bound_ctrl:1
	v_add_f32_dpp v5, v5, v5 row_ror:8 row_mask:0xf bank_mask:0xf bound_ctrl:1
	v_sub_f32_dpp v22, v11, v11 row_ror:8 row_mask:0xf bank_mask:0xf bound_ctrl:1
	v_add_f32_dpp v11, v11, v11 row_ror:8 row_mask:0xf bank_mask:0xf bound_ctrl:1
	v_cndmask_b32_e32 v6, v24, v6, vcc_lo
	v_sub_f32_dpp v26, v17, v17 row_ror:8 row_mask:0xf bank_mask:0xf bound_ctrl:1
	v_add_f32_dpp v17, v17, v17 row_ror:8 row_mask:0xf bank_mask:0xf bound_ctrl:1
	v_cndmask_b32_e32 v18, v25, v18, vcc_lo
	;; [unrolled: 3-line block ×3, first 2 shown]
	v_cmp_eq_u32_e32 vcc_lo, 0, v13
	v_sub_f32_dpp v29, v19, v19 row_ror:8 row_mask:0xf bank_mask:0xf bound_ctrl:1
	v_add_f32_dpp v19, v19, v19 row_ror:8 row_mask:0xf bank_mask:0xf bound_ctrl:1
	v_sub_f32_dpp v13, v1, v1 row_ror:8 row_mask:0xf bank_mask:0xf bound_ctrl:1
	v_add_f32_dpp v1, v1, v1 row_ror:8 row_mask:0xf bank_mask:0xf bound_ctrl:1
	v_cndmask_b32_e32 v15, v30, v15, vcc_lo
	v_cndmask_b32_e32 v3, v12, v3, vcc_lo
	;; [unrolled: 1-line block ×3, first 2 shown]
	v_sub_f32_dpp v23, v14, v14 row_ror:8 row_mask:0xf bank_mask:0xf bound_ctrl:1
	v_add_f32_dpp v14, v14, v14 row_ror:8 row_mask:0xf bank_mask:0xf bound_ctrl:1
	v_cndmask_b32_e32 v7, v21, v7, vcc_lo
	v_cndmask_b32_e32 v11, v22, v11, vcc_lo
	v_sub_f32_dpp v24, v6, v6 row_ror:8 row_mask:0xf bank_mask:0xf bound_ctrl:1
	v_add_f32_dpp v6, v6, v6 row_ror:8 row_mask:0xf bank_mask:0xf bound_ctrl:1
	v_cndmask_b32_e32 v17, v26, v17, vcc_lo
	v_sub_f32_dpp v25, v18, v18 row_ror:8 row_mask:0xf bank_mask:0xf bound_ctrl:1
	v_add_f32_dpp v18, v18, v18 row_ror:8 row_mask:0xf bank_mask:0xf bound_ctrl:1
	v_sub_f32_dpp v27, v4, v4 row_ror:8 row_mask:0xf bank_mask:0xf bound_ctrl:1
	v_add_f32_dpp v4, v4, v4 row_ror:8 row_mask:0xf bank_mask:0xf bound_ctrl:1
	v_cndmask_b32_e32 v1, v13, v1, vcc_lo
	v_sub_f32_dpp v28, v8, v8 row_ror:8 row_mask:0xf bank_mask:0xf bound_ctrl:1
	v_add_f32_dpp v8, v8, v8 row_ror:8 row_mask:0xf bank_mask:0xf bound_ctrl:1
	v_permlanex16_b32 v13, v3, s6, 0xfedcba98 op_sel:[1,1]
	v_permlanex16_b32 v20, v7, s6, 0xfedcba98 op_sel:[1,1]
	v_cndmask_b32_e32 v12, v23, v14, vcc_lo
	v_cndmask_b32_e32 v6, v24, v6, vcc_lo
	v_permlanex16_b32 v21, v11, s6, 0xfedcba98 op_sel:[1,1]
	v_cndmask_b32_e32 v14, v25, v18, vcc_lo
	v_cndmask_b32_e32 v18, v29, v19, vcc_lo
	v_permlanex16_b32 v19, v5, s6, 0xfedcba98 op_sel:[1,1]
	v_permlanex16_b32 v25, v17, s6, 0xfedcba98 op_sel:[1,1]
	v_cndmask_b32_e32 v8, v28, v8, vcc_lo
	v_dual_sub_f32 v34, v13, v3 :: v_dual_add_f32 v3, v3, v13
	s_delay_alu instid0(VALU_DEP_4)
	v_sub_f32_e32 v13, v19, v5
	v_add_f32_e32 v5, v5, v19
	v_sub_f32_e32 v19, v20, v7
	v_permlanex16_b32 v22, v12, s6, 0xfedcba98 op_sel:[1,1]
	v_add_f32_e32 v7, v7, v20
	v_permlanex16_b32 v23, v6, s6, 0xfedcba98 op_sel:[1,1]
	v_dual_sub_f32 v20, v21, v11 :: v_dual_add_f32 v11, v11, v21
	v_permlanex16_b32 v24, v14, s6, 0xfedcba98 op_sel:[1,1]
	v_cndmask_b32_e32 v4, v27, v4, vcc_lo
	v_sub_f32_dpp v31, v2, v2 row_ror:8 row_mask:0xf bank_mask:0xf bound_ctrl:1
	v_add_f32_dpp v2, v2, v2 row_ror:8 row_mask:0xf bank_mask:0xf bound_ctrl:1
	v_sub_f32_dpp v32, v16, v16 row_ror:8 row_mask:0xf bank_mask:0xf bound_ctrl:1
	v_add_f32_dpp v16, v16, v16 row_ror:8 row_mask:0xf bank_mask:0xf bound_ctrl:1
	;; [unrolled: 2-line block ×3, first 2 shown]
	v_sub_f32_e32 v21, v22, v12
	v_permlanex16_b32 v28, v18, s6, 0xfedcba98 op_sel:[1,1]
	v_add_f32_e32 v12, v12, v22
	v_sub_f32_e32 v22, v23, v6
	v_dual_add_f32 v6, v6, v23 :: v_dual_sub_f32 v23, v24, v14
	v_permlanex16_b32 v26, v4, s6, 0xfedcba98 op_sel:[1,1]
	v_add_f32_e32 v14, v14, v24
	v_sub_f32_e32 v24, v25, v17
	v_add_f32_e32 v17, v17, v25
	v_permlanex16_b32 v27, v8, s6, 0xfedcba98 op_sel:[1,1]
	v_dual_cndmask_b32 v2, v31, v2 :: v_dual_sub_f32 v25, v26, v4
	v_permlanex16_b32 v29, v15, s6, 0xfedcba98 op_sel:[1,1]
	v_cndmask_b32_e32 v16, v32, v16, vcc_lo
	v_add_f32_e32 v4, v4, v26
	v_sub_f32_e32 v26, v27, v8
	v_add_f32_e32 v8, v8, v27
	v_sub_f32_e32 v27, v28, v18
	v_cndmask_b32_e32 v10, v33, v10, vcc_lo
	v_cmp_eq_u32_e32 vcc_lo, 0, v0
	v_permlanex16_b32 v30, v2, s6, 0xfedcba98 op_sel:[1,1]
	v_add_f32_e32 v18, v18, v28
	v_permlanex16_b32 v33, v1, s6, 0xfedcba98 op_sel:[1,1]
	v_cndmask_b32_e32 v3, v34, v3, vcc_lo
	v_permlanex16_b32 v32, v10, s6, 0xfedcba98 op_sel:[1,1]
	v_cndmask_b32_e32 v13, v13, v5, vcc_lo
	s_delay_alu instid0(VALU_DEP_2) | instskip(SKIP_4) | instid1(VALU_DEP_3)
	v_dual_cndmask_b32 v5, v19, v7 :: v_dual_add_f32 v0, v10, v32
	v_dual_sub_f32 v28, v29, v15 :: v_dual_add_f32 v15, v15, v29
	v_permlanex16_b32 v31, v16, s6, 0xfedcba98 op_sel:[1,1]
	v_sub_f32_e32 v29, v30, v2
	v_dual_add_f32 v2, v2, v30 :: v_dual_cndmask_b32 v11, v20, v11
	v_sub_f32_e32 v30, v31, v16
	v_add_f32_e32 v16, v16, v31
	v_dual_sub_f32 v31, v32, v10 :: v_dual_sub_f32 v10, v33, v1
	v_add_f32_e32 v1, v1, v33
	v_dual_cndmask_b32 v7, v21, v12 :: v_dual_cndmask_b32 v12, v22, v6
	s_delay_alu instid0(VALU_DEP_3)
	v_cndmask_b32_e32 v19, v31, v0, vcc_lo
	v_cndmask_b32_e32 v6, v23, v14, vcc_lo
	;; [unrolled: 1-line block ×3, first 2 shown]
	v_dual_cndmask_b32 v4, v25, v4 :: v_dual_cndmask_b32 v17, v27, v18
	v_dual_cndmask_b32 v18, v29, v2 :: v_dual_cndmask_b32 v15, v28, v15
	v_cndmask_b32_e32 v8, v26, v8, vcc_lo
	v_cndmask_b32_e32 v16, v30, v16, vcc_lo
	;; [unrolled: 1-line block ×3, first 2 shown]
	v_fma_mixlo_f16 v0, v3, s1, 0
	v_fma_mixlo_f16 v1, v5, s1, 0
	;; [unrolled: 1-line block ×8, first 2 shown]
	v_fma_mixhi_f16 v3, v14, s1, 0
	v_fma_mixhi_f16 v2, v12, s1, 0
	;; [unrolled: 1-line block ×8, first 2 shown]
	s_and_b32 s1, s4, 0xffff
	buffer_store_b128 v[0:3], v9, s[0:3], 0 offen
	;;#ASMSTART
	s_nop 0
	;;#ASMEND
	buffer_store_b128 v[4:7], v9, s[0:3], 16 offen
	;;#ASMSTART
	s_nop 0
	;;#ASMEND
	s_nop 0
	s_sendmsg sendmsg(MSG_DEALLOC_VGPRS)
	s_endpgm
	.section	.rodata,"a",@progbits
	.p2align	6, 0x0
	.amdhsa_kernel _ZN5aiter50hadamard_rotate_activation_fp4quant_inplace_kernelIDF16_Li512ELb0ELi16EEEvPT_PKS1_iii
		.amdhsa_group_segment_fixed_size 0
		.amdhsa_private_segment_fixed_size 0
		.amdhsa_kernarg_size 28
		.amdhsa_user_sgpr_count 15
		.amdhsa_user_sgpr_dispatch_ptr 0
		.amdhsa_user_sgpr_queue_ptr 0
		.amdhsa_user_sgpr_kernarg_segment_ptr 1
		.amdhsa_user_sgpr_dispatch_id 0
		.amdhsa_user_sgpr_private_segment_size 0
		.amdhsa_wavefront_size32 1
		.amdhsa_uses_dynamic_stack 0
		.amdhsa_enable_private_segment 0
		.amdhsa_system_sgpr_workgroup_id_x 1
		.amdhsa_system_sgpr_workgroup_id_y 0
		.amdhsa_system_sgpr_workgroup_id_z 0
		.amdhsa_system_sgpr_workgroup_info 0
		.amdhsa_system_vgpr_workitem_id 0
		.amdhsa_next_free_vgpr 37
		.amdhsa_next_free_sgpr 16
		.amdhsa_reserve_vcc 1
		.amdhsa_float_round_mode_32 0
		.amdhsa_float_round_mode_16_64 0
		.amdhsa_float_denorm_mode_32 3
		.amdhsa_float_denorm_mode_16_64 3
		.amdhsa_dx10_clamp 1
		.amdhsa_ieee_mode 1
		.amdhsa_fp16_overflow 0
		.amdhsa_workgroup_processor_mode 1
		.amdhsa_memory_ordered 1
		.amdhsa_forward_progress 0
		.amdhsa_shared_vgpr_count 0
		.amdhsa_exception_fp_ieee_invalid_op 0
		.amdhsa_exception_fp_denorm_src 0
		.amdhsa_exception_fp_ieee_div_zero 0
		.amdhsa_exception_fp_ieee_overflow 0
		.amdhsa_exception_fp_ieee_underflow 0
		.amdhsa_exception_fp_ieee_inexact 0
		.amdhsa_exception_int_div_zero 0
	.end_amdhsa_kernel
	.section	.text._ZN5aiter50hadamard_rotate_activation_fp4quant_inplace_kernelIDF16_Li512ELb0ELi16EEEvPT_PKS1_iii,"axG",@progbits,_ZN5aiter50hadamard_rotate_activation_fp4quant_inplace_kernelIDF16_Li512ELb0ELi16EEEvPT_PKS1_iii,comdat
.Lfunc_end13:
	.size	_ZN5aiter50hadamard_rotate_activation_fp4quant_inplace_kernelIDF16_Li512ELb0ELi16EEEvPT_PKS1_iii, .Lfunc_end13-_ZN5aiter50hadamard_rotate_activation_fp4quant_inplace_kernelIDF16_Li512ELb0ELi16EEEvPT_PKS1_iii
                                        ; -- End function
	.section	.AMDGPU.csdata,"",@progbits
; Kernel info:
; codeLenInByte = 2536
; NumSgprs: 18
; NumVgprs: 37
; ScratchSize: 0
; MemoryBound: 0
; FloatMode: 240
; IeeeMode: 1
; LDSByteSize: 0 bytes/workgroup (compile time only)
; SGPRBlocks: 2
; VGPRBlocks: 4
; NumSGPRsForWavesPerEU: 18
; NumVGPRsForWavesPerEU: 37
; Occupancy: 16
; WaveLimiterHint : 0
; COMPUTE_PGM_RSRC2:SCRATCH_EN: 0
; COMPUTE_PGM_RSRC2:USER_SGPR: 15
; COMPUTE_PGM_RSRC2:TRAP_HANDLER: 0
; COMPUTE_PGM_RSRC2:TGID_X_EN: 1
; COMPUTE_PGM_RSRC2:TGID_Y_EN: 0
; COMPUTE_PGM_RSRC2:TGID_Z_EN: 0
; COMPUTE_PGM_RSRC2:TIDIG_COMP_CNT: 0
	.section	.text._ZN5aiter50hadamard_rotate_activation_fp4quant_inplace_kernelItLi512ELb0ELi16EEEvPT_PKS1_iii,"axG",@progbits,_ZN5aiter50hadamard_rotate_activation_fp4quant_inplace_kernelItLi512ELb0ELi16EEEvPT_PKS1_iii,comdat
	.protected	_ZN5aiter50hadamard_rotate_activation_fp4quant_inplace_kernelItLi512ELb0ELi16EEEvPT_PKS1_iii ; -- Begin function _ZN5aiter50hadamard_rotate_activation_fp4quant_inplace_kernelItLi512ELb0ELi16EEEvPT_PKS1_iii
	.globl	_ZN5aiter50hadamard_rotate_activation_fp4quant_inplace_kernelItLi512ELb0ELi16EEEvPT_PKS1_iii
	.p2align	8
	.type	_ZN5aiter50hadamard_rotate_activation_fp4quant_inplace_kernelItLi512ELb0ELi16EEEvPT_PKS1_iii,@function
_ZN5aiter50hadamard_rotate_activation_fp4quant_inplace_kernelItLi512ELb0ELi16EEEvPT_PKS1_iii: ; @_ZN5aiter50hadamard_rotate_activation_fp4quant_inplace_kernelItLi512ELb0ELi16EEEvPT_PKS1_iii
; %bb.0:
	s_clause 0x1
	s_load_b64 s[10:11], s[0:1], 0x10
	s_load_b128 s[4:7], s[0:1], 0x0
	s_mov_b32 s1, 0
	v_lshlrev_b32_e32 v9, 5, v0
	s_mov_b32 s3, -1
	s_waitcnt lgkmcnt(0)
	s_sub_i32 s2, s10, s15
	s_cmp_lt_u32 s10, s15
	s_mul_i32 s0, s15, s11
	s_cselect_b32 s10, s2, 1
	s_lshl_b64 s[8:9], s[0:1], 1
	s_mul_i32 s1, s11, s10
	s_add_u32 s0, s6, s8
	s_addc_u32 s6, s7, s9
	s_lshl_b32 s2, s1, 1
	s_and_b32 s1, s6, 0xffff
	s_clause 0x1
	buffer_load_b128 v[5:8], v9, s[0:3], 16 offen
	buffer_load_b128 v[1:4], v9, s[0:3], 0 offen
	s_mov_b32 s1, 0x76543210
	s_add_u32 s0, s4, s8
	s_addc_u32 s4, s5, s9
	s_lshl_b32 s2, s10, 10
	s_waitcnt vmcnt(1)
	v_and_b32_e32 v20, 0xffff, v8
	v_lshrrev_b32_e32 v8, 16, v8
	s_delay_alu instid0(VALU_DEP_2) | instskip(NEXT) | instid1(VALU_DEP_2)
	v_cvt_f32_u32_e32 v20, v20
	v_cvt_f32_u32_e32 v8, v8
	s_waitcnt vmcnt(0)
	v_and_b32_e32 v17, 0xffff, v2
	v_lshrrev_b32_e32 v2, 16, v2
	s_delay_alu instid0(VALU_DEP_2) | instskip(NEXT) | instid1(VALU_DEP_2)
	v_cvt_f32_u32_e32 v17, v17
	v_cvt_f32_u32_e32 v2, v2
	v_and_b32_e32 v12, 2, v0
	v_and_b32_e32 v19, 0xffff, v3
	v_lshrrev_b32_e32 v3, 16, v3
	s_delay_alu instid0(VALU_DEP_4)
	v_sub_f32_e32 v23, v17, v2
	v_add_f32_e32 v2, v17, v2
	v_and_b32_e32 v18, 0xffff, v7
	v_lshrrev_b32_e32 v7, 16, v7
	v_cvt_f32_u32_e32 v19, v19
	v_cvt_f32_u32_e32 v3, v3
	v_and_b32_e32 v11, 1, v0
	v_cvt_f32_u32_e32 v18, v18
	v_cvt_f32_u32_e32 v7, v7
	v_and_b32_e32 v16, 0xffff, v6
	v_lshrrev_b32_e32 v6, 16, v6
	v_sub_f32_e32 v24, v19, v3
	v_add_f32_e32 v3, v19, v3
	v_cmp_eq_u32_e32 vcc_lo, 0, v11
	v_cvt_f32_u32_e32 v16, v16
	v_cvt_f32_u32_e32 v6, v6
	v_and_b32_e32 v21, 0xffff, v4
	v_lshrrev_b32_e32 v4, 16, v4
	v_and_b32_e32 v15, 0xffff, v1
	v_lshrrev_b32_e32 v1, 16, v1
	s_delay_alu instid0(VALU_DEP_4) | instskip(NEXT) | instid1(VALU_DEP_4)
	v_cvt_f32_u32_e32 v21, v21
	v_cvt_f32_u32_e32 v4, v4
	v_and_b32_e32 v14, 0xffff, v5
	v_lshrrev_b32_e32 v5, 16, v5
	v_cvt_f32_u32_e32 v15, v15
	v_cvt_f32_u32_e32 v1, v1
	v_sub_f32_e32 v25, v21, v4
	v_cvt_f32_u32_e32 v14, v14
	v_cvt_f32_u32_e32 v5, v5
	v_and_b32_e32 v13, 4, v0
	v_and_b32_e32 v10, 8, v0
	;; [unrolled: 1-line block ×3, first 2 shown]
	v_sub_f32_e32 v22, v15, v1
	v_add_f32_e32 v26, v14, v5
	v_sub_f32_e32 v5, v14, v5
	v_dual_add_f32 v1, v15, v1 :: v_dual_add_f32 v14, v16, v6
	v_dual_sub_f32 v6, v16, v6 :: v_dual_add_f32 v15, v18, v7
	v_dual_sub_f32 v7, v18, v7 :: v_dual_add_f32 v4, v21, v4
	v_add_f32_e32 v16, v20, v8
	v_dual_sub_f32 v8, v20, v8 :: v_dual_sub_f32 v19, v22, v23
	v_dual_sub_f32 v17, v1, v2 :: v_dual_add_f32 v18, v22, v23
	s_delay_alu instid0(VALU_DEP_4)
	v_dual_add_f32 v21, v24, v25 :: v_dual_sub_f32 v20, v3, v4
	v_dual_add_f32 v23, v26, v14 :: v_dual_sub_f32 v22, v24, v25
	v_add_f32_e32 v1, v1, v2
	v_dual_sub_f32 v2, v26, v14 :: v_dual_add_f32 v3, v3, v4
	v_add_f32_e32 v14, v5, v6
	v_dual_sub_f32 v5, v5, v6 :: v_dual_add_f32 v4, v15, v16
	v_sub_f32_e32 v6, v15, v16
	v_add_f32_e32 v15, v7, v8
	v_dual_sub_f32 v7, v7, v8 :: v_dual_sub_f32 v8, v1, v3
	v_add_f32_e32 v16, v18, v21
	v_dual_sub_f32 v18, v18, v21 :: v_dual_add_f32 v21, v17, v20
	v_dual_sub_f32 v17, v17, v20 :: v_dual_add_f32 v20, v19, v22
	v_sub_f32_e32 v19, v19, v22
	v_dual_add_f32 v1, v1, v3 :: v_dual_add_f32 v22, v23, v4
	v_dual_sub_f32 v3, v23, v4 :: v_dual_add_f32 v4, v14, v15
	v_sub_f32_e32 v14, v14, v15
	v_add_f32_e32 v15, v2, v6
	v_sub_f32_e32 v2, v2, v6
	v_add_f32_e32 v6, v5, v7
	;; [unrolled: 2-line block ×3, first 2 shown]
	v_dual_sub_f32 v1, v1, v22 :: v_dual_add_f32 v22, v16, v4
	v_sub_f32_e32 v4, v16, v4
	v_add_f32_e32 v16, v21, v15
	v_sub_f32_e32 v15, v21, v15
	v_add_f32_e32 v21, v20, v6
	v_sub_f32_e32 v6, v20, v6
	v_sub_f32_dpp v23, v22, v22 quad_perm:[1,0,3,2] row_mask:0xf bank_mask:0xf bound_ctrl:1
	v_add_f32_dpp v22, v22, v22 quad_perm:[1,0,3,2] row_mask:0xf bank_mask:0xf bound_ctrl:1
	v_add_f32_e32 v20, v8, v3
	v_dual_sub_f32 v3, v8, v3 :: v_dual_add_f32 v8, v18, v14
	v_sub_f32_e32 v14, v18, v14
	v_sub_f32_dpp v24, v16, v16 quad_perm:[1,0,3,2] row_mask:0xf bank_mask:0xf bound_ctrl:1
	v_add_f32_dpp v16, v16, v16 quad_perm:[1,0,3,2] row_mask:0xf bank_mask:0xf bound_ctrl:1
	v_sub_f32_dpp v25, v21, v21 quad_perm:[1,0,3,2] row_mask:0xf bank_mask:0xf bound_ctrl:1
	v_add_f32_dpp v21, v21, v21 quad_perm:[1,0,3,2] row_mask:0xf bank_mask:0xf bound_ctrl:1
	;; [unrolled: 2-line block ×3, first 2 shown]
	v_add_f32_e32 v18, v17, v2
	v_sub_f32_dpp v32, v15, v15 quad_perm:[1,0,3,2] row_mask:0xf bank_mask:0xf bound_ctrl:1
	v_add_f32_dpp v15, v15, v15 quad_perm:[1,0,3,2] row_mask:0xf bank_mask:0xf bound_ctrl:1
	v_dual_sub_f32 v2, v17, v2 :: v_dual_add_f32 v17, v19, v5
	v_sub_f32_e32 v5, v19, v5
	v_sub_f32_dpp v19, v7, v7 quad_perm:[1,0,3,2] row_mask:0xf bank_mask:0xf bound_ctrl:1
	s_delay_alu instid0(VALU_DEP_4)
	v_cndmask_b32_e32 v15, v32, v15, vcc_lo
	v_add_f32_dpp v7, v7, v7 quad_perm:[1,0,3,2] row_mask:0xf bank_mask:0xf bound_ctrl:1
	v_sub_f32_dpp v27, v8, v8 quad_perm:[1,0,3,2] row_mask:0xf bank_mask:0xf bound_ctrl:1
	v_add_f32_dpp v8, v8, v8 quad_perm:[1,0,3,2] row_mask:0xf bank_mask:0xf bound_ctrl:1
	v_sub_f32_dpp v29, v17, v17 quad_perm:[1,0,3,2] row_mask:0xf bank_mask:0xf bound_ctrl:1
	;; [unrolled: 2-line block ×7, first 2 shown]
	v_add_f32_dpp v5, v5, v5 quad_perm:[1,0,3,2] row_mask:0xf bank_mask:0xf bound_ctrl:1
	v_cndmask_b32_e32 v7, v19, v7, vcc_lo
	v_sub_f32_dpp v35, v14, v14 quad_perm:[1,0,3,2] row_mask:0xf bank_mask:0xf bound_ctrl:1
	v_add_f32_dpp v14, v14, v14 quad_perm:[1,0,3,2] row_mask:0xf bank_mask:0xf bound_ctrl:1
	v_cndmask_b32_e32 v19, v23, v22, vcc_lo
	v_sub_f32_dpp v26, v20, v20 quad_perm:[1,0,3,2] row_mask:0xf bank_mask:0xf bound_ctrl:1
	v_add_f32_dpp v20, v20, v20 quad_perm:[1,0,3,2] row_mask:0xf bank_mask:0xf bound_ctrl:1
	v_dual_cndmask_b32 v16, v24, v16 :: v_dual_cndmask_b32 v21, v25, v21
	v_cndmask_b32_e32 v1, v30, v1, vcc_lo
	v_sub_f32_dpp v28, v18, v18 quad_perm:[1,0,3,2] row_mask:0xf bank_mask:0xf bound_ctrl:1
	v_add_f32_dpp v18, v18, v18 quad_perm:[1,0,3,2] row_mask:0xf bank_mask:0xf bound_ctrl:1
	v_dual_cndmask_b32 v20, v26, v20 :: v_dual_cndmask_b32 v17, v29, v17
	v_dual_cndmask_b32 v8, v27, v8 :: v_dual_cndmask_b32 v3, v34, v3
	s_delay_alu instid0(VALU_DEP_3)
	v_dual_cndmask_b32 v18, v28, v18 :: v_dual_cndmask_b32 v5, v11, v5
	v_sub_f32_dpp v11, v7, v7 quad_perm:[2,3,0,1] row_mask:0xf bank_mask:0xf bound_ctrl:1
	v_add_f32_dpp v7, v7, v7 quad_perm:[2,3,0,1] row_mask:0xf bank_mask:0xf bound_ctrl:1
	v_cndmask_b32_e32 v6, v33, v6, vcc_lo
	v_sub_f32_dpp v22, v19, v19 quad_perm:[2,3,0,1] row_mask:0xf bank_mask:0xf bound_ctrl:1
	v_add_f32_dpp v19, v19, v19 quad_perm:[2,3,0,1] row_mask:0xf bank_mask:0xf bound_ctrl:1
	v_cndmask_b32_e32 v4, v31, v4, vcc_lo
	v_sub_f32_dpp v23, v16, v16 quad_perm:[2,3,0,1] row_mask:0xf bank_mask:0xf bound_ctrl:1
	v_add_f32_dpp v16, v16, v16 quad_perm:[2,3,0,1] row_mask:0xf bank_mask:0xf bound_ctrl:1
	v_sub_f32_dpp v24, v21, v21 quad_perm:[2,3,0,1] row_mask:0xf bank_mask:0xf bound_ctrl:1
	v_add_f32_dpp v21, v21, v21 quad_perm:[2,3,0,1] row_mask:0xf bank_mask:0xf bound_ctrl:1
	v_cndmask_b32_e32 v14, v35, v14, vcc_lo
	v_sub_f32_dpp v29, v1, v1 quad_perm:[2,3,0,1] row_mask:0xf bank_mask:0xf bound_ctrl:1
	v_add_f32_dpp v1, v1, v1 quad_perm:[2,3,0,1] row_mask:0xf bank_mask:0xf bound_ctrl:1
	v_cndmask_b32_e32 v2, v36, v2, vcc_lo
	v_cmp_eq_u32_e32 vcc_lo, 0, v12
	v_sub_f32_dpp v25, v20, v20 quad_perm:[2,3,0,1] row_mask:0xf bank_mask:0xf bound_ctrl:1
	v_add_f32_dpp v20, v20, v20 quad_perm:[2,3,0,1] row_mask:0xf bank_mask:0xf bound_ctrl:1
	v_sub_f32_dpp v26, v8, v8 quad_perm:[2,3,0,1] row_mask:0xf bank_mask:0xf bound_ctrl:1
	v_add_f32_dpp v8, v8, v8 quad_perm:[2,3,0,1] row_mask:0xf bank_mask:0xf bound_ctrl:1
	v_cndmask_b32_e32 v1, v29, v1, vcc_lo
	v_sub_f32_dpp v27, v18, v18 quad_perm:[2,3,0,1] row_mask:0xf bank_mask:0xf bound_ctrl:1
	v_add_f32_dpp v18, v18, v18 quad_perm:[2,3,0,1] row_mask:0xf bank_mask:0xf bound_ctrl:1
	v_sub_f32_dpp v28, v17, v17 quad_perm:[2,3,0,1] row_mask:0xf bank_mask:0xf bound_ctrl:1
	v_add_f32_dpp v17, v17, v17 quad_perm:[2,3,0,1] row_mask:0xf bank_mask:0xf bound_ctrl:1
	;; [unrolled: 2-line block ×3, first 2 shown]
	v_cndmask_b32_e32 v7, v11, v7, vcc_lo
	v_dual_cndmask_b32 v11, v22, v19 :: v_dual_cndmask_b32 v16, v23, v16
	v_cndmask_b32_e32 v17, v28, v17, vcc_lo
	v_cndmask_b32_e32 v19, v24, v21, vcc_lo
	v_sub_f32_dpp v30, v4, v4 quad_perm:[2,3,0,1] row_mask:0xf bank_mask:0xf bound_ctrl:1
	v_add_f32_dpp v4, v4, v4 quad_perm:[2,3,0,1] row_mask:0xf bank_mask:0xf bound_ctrl:1
	v_sub_f32_dpp v31, v15, v15 quad_perm:[2,3,0,1] row_mask:0xf bank_mask:0xf bound_ctrl:1
	v_add_f32_dpp v15, v15, v15 quad_perm:[2,3,0,1] row_mask:0xf bank_mask:0xf bound_ctrl:1
	;; [unrolled: 2-line block ×6, first 2 shown]
	v_dual_cndmask_b32 v20, v25, v20 :: v_dual_cndmask_b32 v15, v31, v15
	v_dual_cndmask_b32 v8, v26, v8 :: v_dual_cndmask_b32 v3, v33, v3
	;; [unrolled: 1-line block ×3, first 2 shown]
	v_mov_b32_dpp v12, v7 row_shl:4 row_mask:0xf bank_mask:0x5 bound_ctrl:1
	v_mov_b32_dpp v21, v11 row_shl:4 row_mask:0xf bank_mask:0x5 bound_ctrl:1
	;; [unrolled: 1-line block ×9, first 2 shown]
	v_mov_b32_dpp v12, v7 row_shr:4 row_mask:0xf bank_mask:0xa bound_ctrl:1
	v_cndmask_b32_e32 v6, v32, v6, vcc_lo
	v_mov_b32_dpp v21, v11 row_shr:4 row_mask:0xf bank_mask:0xa bound_ctrl:1
	v_cndmask_b32_e32 v4, v30, v4, vcc_lo
	v_mov_b32_dpp v22, v16 row_shr:4 row_mask:0xf bank_mask:0xa bound_ctrl:1
	v_cndmask_b32_e32 v2, v35, v2, vcc_lo
	v_mov_b32_dpp v23, v19 row_shr:4 row_mask:0xf bank_mask:0xa bound_ctrl:1
	v_cndmask_b32_e32 v14, v34, v14, vcc_lo
	v_mov_b32_dpp v30, v15 row_shl:4 row_mask:0xf bank_mask:0x5 bound_ctrl:1
	v_mov_b32_dpp v32, v3 row_shl:4 row_mask:0xf bank_mask:0x5 bound_ctrl:1
	;; [unrolled: 1-line block ×3, first 2 shown]
	v_mov_b32_dpp v24, v20 row_shr:4 row_mask:0xf bank_mask:0xa bound_ctrl:1
	v_mov_b32_dpp v25, v8 row_shr:4 row_mask:0xf bank_mask:0xa bound_ctrl:1
	;; [unrolled: 1-line block ×5, first 2 shown]
	v_dual_sub_f32 v36, v12, v7 :: v_dual_add_f32 v7, v7, v12
	v_mov_b32_dpp v31, v6 row_shl:4 row_mask:0xf bank_mask:0x5 bound_ctrl:1
	v_dual_sub_f32 v12, v21, v11 :: v_dual_add_f32 v11, v11, v21
	v_mov_b32_dpp v29, v4 row_shl:4 row_mask:0xf bank_mask:0x5 bound_ctrl:1
	v_sub_f32_e32 v21, v22, v16
	v_mov_b32_dpp v34, v2 row_shl:4 row_mask:0xf bank_mask:0x5 bound_ctrl:1
	v_add_f32_e32 v16, v16, v22
	v_sub_f32_e32 v22, v23, v19
	v_add_f32_e32 v19, v19, v23
	v_mov_b32_dpp v33, v14 row_shl:4 row_mask:0xf bank_mask:0x5 bound_ctrl:1
	v_mov_b32_dpp v29, v4 row_shr:4 row_mask:0xf bank_mask:0xa bound_ctrl:1
	v_mov_b32_dpp v30, v15 row_shr:4 row_mask:0xf bank_mask:0xa bound_ctrl:1
	;; [unrolled: 1-line block ×7, first 2 shown]
	v_sub_f32_e32 v23, v24, v20
	v_add_f32_e32 v20, v20, v24
	v_sub_f32_e32 v24, v25, v8
	v_dual_add_f32 v8, v8, v25 :: v_dual_sub_f32 v25, v26, v18
	v_add_f32_e32 v18, v18, v26
	v_dual_sub_f32 v26, v27, v17 :: v_dual_add_f32 v17, v17, v27
	v_cmp_eq_u32_e32 vcc_lo, 0, v13
	v_sub_f32_e32 v27, v28, v1
	v_add_f32_e32 v1, v1, v28
	v_dual_sub_f32 v28, v29, v4 :: v_dual_sub_f32 v13, v35, v5
	v_dual_add_f32 v4, v4, v29 :: v_dual_sub_f32 v29, v30, v15
	v_add_f32_e32 v15, v15, v30
	v_dual_sub_f32 v30, v31, v6 :: v_dual_add_f32 v5, v5, v35
	v_add_f32_e32 v6, v6, v31
	v_sub_f32_e32 v31, v32, v3
	v_dual_add_f32 v3, v3, v32 :: v_dual_sub_f32 v32, v33, v14
	v_dual_cndmask_b32 v7, v36, v7 :: v_dual_add_f32 v14, v14, v33
	v_cndmask_b32_e32 v11, v12, v11, vcc_lo
	v_sub_f32_e32 v33, v34, v2
	v_dual_add_f32 v2, v2, v34 :: v_dual_cndmask_b32 v1, v27, v1
	v_dual_cndmask_b32 v12, v21, v16 :: v_dual_cndmask_b32 v17, v26, v17
	v_dual_cndmask_b32 v16, v22, v19 :: v_dual_cndmask_b32 v5, v13, v5
	v_cndmask_b32_e32 v19, v23, v20, vcc_lo
	v_dual_cndmask_b32 v8, v24, v8 :: v_dual_cndmask_b32 v15, v29, v15
	v_dual_cndmask_b32 v18, v25, v18 :: v_dual_cndmask_b32 v3, v31, v3
	v_sub_f32_dpp v13, v7, v7 row_ror:8 row_mask:0xf bank_mask:0xf bound_ctrl:1
	v_add_f32_dpp v7, v7, v7 row_ror:8 row_mask:0xf bank_mask:0xf bound_ctrl:1
	v_cndmask_b32_e32 v4, v28, v4, vcc_lo
	v_sub_f32_dpp v20, v11, v11 row_ror:8 row_mask:0xf bank_mask:0xf bound_ctrl:1
	v_add_f32_dpp v11, v11, v11 row_ror:8 row_mask:0xf bank_mask:0xf bound_ctrl:1
	v_cndmask_b32_e32 v6, v30, v6, vcc_lo
	v_sub_f32_dpp v21, v12, v12 row_ror:8 row_mask:0xf bank_mask:0xf bound_ctrl:1
	v_add_f32_dpp v12, v12, v12 row_ror:8 row_mask:0xf bank_mask:0xf bound_ctrl:1
	v_sub_f32_dpp v22, v16, v16 row_ror:8 row_mask:0xf bank_mask:0xf bound_ctrl:1
	v_add_f32_dpp v16, v16, v16 row_ror:8 row_mask:0xf bank_mask:0xf bound_ctrl:1
	v_cndmask_b32_e32 v14, v32, v14, vcc_lo
	v_sub_f32_dpp v26, v17, v17 row_ror:8 row_mask:0xf bank_mask:0xf bound_ctrl:1
	v_add_f32_dpp v17, v17, v17 row_ror:8 row_mask:0xf bank_mask:0xf bound_ctrl:1
	v_cndmask_b32_e32 v2, v33, v2, vcc_lo
	v_cmp_eq_u32_e32 vcc_lo, 0, v10
	v_sub_f32_dpp v23, v19, v19 row_ror:8 row_mask:0xf bank_mask:0xf bound_ctrl:1
	v_add_f32_dpp v19, v19, v19 row_ror:8 row_mask:0xf bank_mask:0xf bound_ctrl:1
	v_sub_f32_dpp v24, v8, v8 row_ror:8 row_mask:0xf bank_mask:0xf bound_ctrl:1
	v_add_f32_dpp v8, v8, v8 row_ror:8 row_mask:0xf bank_mask:0xf bound_ctrl:1
	v_cndmask_b32_e32 v17, v26, v17, vcc_lo
	v_sub_f32_dpp v25, v18, v18 row_ror:8 row_mask:0xf bank_mask:0xf bound_ctrl:1
	v_add_f32_dpp v18, v18, v18 row_ror:8 row_mask:0xf bank_mask:0xf bound_ctrl:1
	v_sub_f32_dpp v27, v1, v1 row_ror:8 row_mask:0xf bank_mask:0xf bound_ctrl:1
	v_add_f32_dpp v1, v1, v1 row_ror:8 row_mask:0xf bank_mask:0xf bound_ctrl:1
	;; [unrolled: 2-line block ×6, first 2 shown]
	v_cndmask_b32_e32 v7, v13, v7, vcc_lo
	v_sub_f32_dpp v28, v4, v4 row_ror:8 row_mask:0xf bank_mask:0xf bound_ctrl:1
	v_add_f32_dpp v4, v4, v4 row_ror:8 row_mask:0xf bank_mask:0xf bound_ctrl:1
	v_cndmask_b32_e32 v11, v20, v11, vcc_lo
	v_sub_f32_dpp v30, v6, v6 row_ror:8 row_mask:0xf bank_mask:0xf bound_ctrl:1
	v_add_f32_dpp v6, v6, v6 row_ror:8 row_mask:0xf bank_mask:0xf bound_ctrl:1
	v_dual_cndmask_b32 v12, v21, v12 :: v_dual_cndmask_b32 v1, v27, v1
	v_cndmask_b32_e32 v13, v22, v16, vcc_lo
	v_sub_f32_dpp v32, v14, v14 row_ror:8 row_mask:0xf bank_mask:0xf bound_ctrl:1
	v_add_f32_dpp v14, v14, v14 row_ror:8 row_mask:0xf bank_mask:0xf bound_ctrl:1
	v_dual_cndmask_b32 v16, v23, v19 :: v_dual_cndmask_b32 v5, v10, v5
	v_dual_cndmask_b32 v8, v24, v8 :: v_dual_cndmask_b32 v15, v29, v15
	;; [unrolled: 1-line block ×3, first 2 shown]
	v_permlanex16_b32 v10, v7, s1, 0xfedcba98 op_sel:[1,1]
	v_cndmask_b32_e32 v4, v28, v4, vcc_lo
	v_permlanex16_b32 v19, v11, s1, 0xfedcba98 op_sel:[1,1]
	v_cndmask_b32_e32 v6, v30, v6, vcc_lo
	;; [unrolled: 2-line block ×4, first 2 shown]
	v_permlanex16_b32 v22, v16, s1, 0xfedcba98 op_sel:[1,1]
	v_permlanex16_b32 v23, v8, s1, 0xfedcba98 op_sel:[1,1]
	;; [unrolled: 1-line block ×8, first 2 shown]
	v_dual_sub_f32 v34, v10, v7 :: v_dual_add_f32 v7, v7, v10
	v_permlanex16_b32 v27, v4, s1, 0xfedcba98 op_sel:[1,1]
	v_sub_f32_e32 v10, v19, v11
	v_add_f32_e32 v11, v11, v19
	v_permlanex16_b32 v29, v6, s1, 0xfedcba98 op_sel:[1,1]
	v_sub_f32_e32 v19, v20, v12
	v_permlanex16_b32 v32, v2, s1, 0xfedcba98 op_sel:[1,1]
	v_add_f32_e32 v12, v12, v20
	v_sub_f32_e32 v20, v21, v13
	v_add_f32_e32 v13, v13, v21
	v_permlanex16_b32 v31, v14, s1, 0xfedcba98 op_sel:[1,1]
	v_dual_sub_f32 v21, v22, v16 :: v_dual_add_f32 v16, v16, v22
	v_sub_f32_e32 v22, v23, v8
	v_add_f32_e32 v8, v8, v23
	v_dual_sub_f32 v23, v24, v18 :: v_dual_add_f32 v18, v18, v24
	v_sub_f32_e32 v24, v25, v17
	v_add_f32_e32 v17, v17, v25
	v_sub_f32_e32 v25, v26, v1
	v_dual_add_f32 v1, v1, v26 :: v_dual_sub_f32 v26, v27, v4
	v_add_f32_e32 v4, v4, v27
	v_sub_f32_e32 v27, v28, v15
	v_add_f32_e32 v15, v15, v28
	v_cmp_eq_u32_e32 vcc_lo, 0, v0
	v_sub_f32_e32 v28, v29, v6
	v_add_f32_e32 v6, v6, v29
	v_sub_f32_e32 v29, v30, v3
	v_add_f32_e32 v3, v3, v30
	v_sub_f32_e32 v30, v31, v14
	v_dual_add_f32 v14, v14, v31 :: v_dual_cndmask_b32 v17, v24, v17
	v_dual_sub_f32 v31, v32, v2 :: v_dual_add_f32 v0, v2, v32
	v_cndmask_b32_e32 v1, v25, v1, vcc_lo
	v_dual_sub_f32 v2, v33, v5 :: v_dual_cndmask_b32 v15, v27, v15
	v_add_f32_e32 v5, v5, v33
	v_cndmask_b32_e32 v7, v34, v7, vcc_lo
	v_dual_cndmask_b32 v10, v10, v11 :: v_dual_cndmask_b32 v11, v19, v12
	v_dual_cndmask_b32 v12, v20, v13 :: v_dual_cndmask_b32 v3, v29, v3
	v_cndmask_b32_e32 v13, v21, v16, vcc_lo
	v_cndmask_b32_e32 v8, v22, v8, vcc_lo
	;; [unrolled: 1-line block ×5, first 2 shown]
	v_dual_cndmask_b32 v14, v30, v14 :: v_dual_mul_f32 v15, 0x3d3504f3, v15
	v_cndmask_b32_e32 v0, v31, v0, vcc_lo
	v_dual_cndmask_b32 v2, v2, v5 :: v_dual_mul_f32 v5, 0x3d3504f3, v7
	v_dual_mul_f32 v7, 0x3d3504f3, v10 :: v_dual_mul_f32 v10, 0x3d3504f3, v11
	s_delay_alu instid0(VALU_DEP_3)
	v_mul_f32_e32 v19, 0x3d3504f3, v0
	v_dual_mul_f32 v11, 0x3d3504f3, v12 :: v_dual_mul_f32 v12, 0x3d3504f3, v13
	v_mul_f32_e32 v8, 0x3d3504f3, v8
	v_dual_mul_f32 v13, 0x3d3504f3, v16 :: v_dual_mul_f32 v16, 0x3d3504f3, v17
	v_dual_mul_f32 v17, 0x3d3504f3, v1 :: v_dual_mul_f32 v4, 0x3d3504f3, v4
	v_mul_f32_e32 v18, 0x3d3504f3, v6
	v_mul_f32_e32 v6, 0x3d3504f3, v3
	;; [unrolled: 1-line block ×4, first 2 shown]
	v_perm_b32 v3, v16, v13, 0x7060302
	v_perm_b32 v2, v8, v12, 0x7060302
	;; [unrolled: 1-line block ×8, first 2 shown]
	s_and_b32 s1, s4, 0xffff
	buffer_store_b128 v[0:3], v9, s[0:3], 0 offen
	;;#ASMSTART
	s_nop 0
	;;#ASMEND
	buffer_store_b128 v[4:7], v9, s[0:3], 16 offen
	;;#ASMSTART
	s_nop 0
	;;#ASMEND
	s_nop 0
	s_sendmsg sendmsg(MSG_DEALLOC_VGPRS)
	s_endpgm
	.section	.rodata,"a",@progbits
	.p2align	6, 0x0
	.amdhsa_kernel _ZN5aiter50hadamard_rotate_activation_fp4quant_inplace_kernelItLi512ELb0ELi16EEEvPT_PKS1_iii
		.amdhsa_group_segment_fixed_size 0
		.amdhsa_private_segment_fixed_size 0
		.amdhsa_kernarg_size 28
		.amdhsa_user_sgpr_count 15
		.amdhsa_user_sgpr_dispatch_ptr 0
		.amdhsa_user_sgpr_queue_ptr 0
		.amdhsa_user_sgpr_kernarg_segment_ptr 1
		.amdhsa_user_sgpr_dispatch_id 0
		.amdhsa_user_sgpr_private_segment_size 0
		.amdhsa_wavefront_size32 1
		.amdhsa_uses_dynamic_stack 0
		.amdhsa_enable_private_segment 0
		.amdhsa_system_sgpr_workgroup_id_x 1
		.amdhsa_system_sgpr_workgroup_id_y 0
		.amdhsa_system_sgpr_workgroup_id_z 0
		.amdhsa_system_sgpr_workgroup_info 0
		.amdhsa_system_vgpr_workitem_id 0
		.amdhsa_next_free_vgpr 37
		.amdhsa_next_free_sgpr 16
		.amdhsa_reserve_vcc 1
		.amdhsa_float_round_mode_32 0
		.amdhsa_float_round_mode_16_64 0
		.amdhsa_float_denorm_mode_32 3
		.amdhsa_float_denorm_mode_16_64 3
		.amdhsa_dx10_clamp 1
		.amdhsa_ieee_mode 1
		.amdhsa_fp16_overflow 0
		.amdhsa_workgroup_processor_mode 1
		.amdhsa_memory_ordered 1
		.amdhsa_forward_progress 0
		.amdhsa_shared_vgpr_count 0
		.amdhsa_exception_fp_ieee_invalid_op 0
		.amdhsa_exception_fp_denorm_src 0
		.amdhsa_exception_fp_ieee_div_zero 0
		.amdhsa_exception_fp_ieee_overflow 0
		.amdhsa_exception_fp_ieee_underflow 0
		.amdhsa_exception_fp_ieee_inexact 0
		.amdhsa_exception_int_div_zero 0
	.end_amdhsa_kernel
	.section	.text._ZN5aiter50hadamard_rotate_activation_fp4quant_inplace_kernelItLi512ELb0ELi16EEEvPT_PKS1_iii,"axG",@progbits,_ZN5aiter50hadamard_rotate_activation_fp4quant_inplace_kernelItLi512ELb0ELi16EEEvPT_PKS1_iii,comdat
.Lfunc_end14:
	.size	_ZN5aiter50hadamard_rotate_activation_fp4quant_inplace_kernelItLi512ELb0ELi16EEEvPT_PKS1_iii, .Lfunc_end14-_ZN5aiter50hadamard_rotate_activation_fp4quant_inplace_kernelItLi512ELb0ELi16EEEvPT_PKS1_iii
                                        ; -- End function
	.section	.AMDGPU.csdata,"",@progbits
; Kernel info:
; codeLenInByte = 2692
; NumSgprs: 18
; NumVgprs: 37
; ScratchSize: 0
; MemoryBound: 0
; FloatMode: 240
; IeeeMode: 1
; LDSByteSize: 0 bytes/workgroup (compile time only)
; SGPRBlocks: 2
; VGPRBlocks: 4
; NumSGPRsForWavesPerEU: 18
; NumVGPRsForWavesPerEU: 37
; Occupancy: 16
; WaveLimiterHint : 0
; COMPUTE_PGM_RSRC2:SCRATCH_EN: 0
; COMPUTE_PGM_RSRC2:USER_SGPR: 15
; COMPUTE_PGM_RSRC2:TRAP_HANDLER: 0
; COMPUTE_PGM_RSRC2:TGID_X_EN: 1
; COMPUTE_PGM_RSRC2:TGID_Y_EN: 0
; COMPUTE_PGM_RSRC2:TGID_Z_EN: 0
; COMPUTE_PGM_RSRC2:TIDIG_COMP_CNT: 0
	.section	.text._ZN5aiter50hadamard_rotate_activation_fp4quant_inplace_kernelIDF16_Li1024ELb0ELi32EEEvPT_PKS1_iii,"axG",@progbits,_ZN5aiter50hadamard_rotate_activation_fp4quant_inplace_kernelIDF16_Li1024ELb0ELi32EEEvPT_PKS1_iii,comdat
	.protected	_ZN5aiter50hadamard_rotate_activation_fp4quant_inplace_kernelIDF16_Li1024ELb0ELi32EEEvPT_PKS1_iii ; -- Begin function _ZN5aiter50hadamard_rotate_activation_fp4quant_inplace_kernelIDF16_Li1024ELb0ELi32EEEvPT_PKS1_iii
	.globl	_ZN5aiter50hadamard_rotate_activation_fp4quant_inplace_kernelIDF16_Li1024ELb0ELi32EEEvPT_PKS1_iii
	.p2align	8
	.type	_ZN5aiter50hadamard_rotate_activation_fp4quant_inplace_kernelIDF16_Li1024ELb0ELi32EEEvPT_PKS1_iii,@function
_ZN5aiter50hadamard_rotate_activation_fp4quant_inplace_kernelIDF16_Li1024ELb0ELi32EEEvPT_PKS1_iii: ; @_ZN5aiter50hadamard_rotate_activation_fp4quant_inplace_kernelIDF16_Li1024ELb0ELi32EEEvPT_PKS1_iii
; %bb.0:
	s_clause 0x1
	s_load_b64 s[10:11], s[0:1], 0x10
	s_load_b128 s[4:7], s[0:1], 0x0
	s_mov_b32 s1, 0
	v_lshlrev_b32_e32 v1, 6, v0
	s_mov_b32 s3, -1
	s_waitcnt lgkmcnt(0)
	s_sub_i32 s2, s10, s15
	s_cmp_lt_u32 s10, s15
	s_mul_i32 s0, s15, s11
	s_cselect_b32 s10, s2, 1
	s_lshl_b64 s[8:9], s[0:1], 1
	s_mul_i32 s1, s11, s10
	s_add_u32 s0, s6, s8
	s_addc_u32 s6, s7, s9
	s_lshl_b32 s2, s1, 1
	s_and_b32 s1, s6, 0xffff
	s_clause 0x3
	buffer_load_b128 v[2:5], v1, s[0:3], 0 offen
	buffer_load_b128 v[6:9], v1, s[0:3], 16 offen
	;; [unrolled: 1-line block ×4, first 2 shown]
	s_mov_b32 s1, 0x76543210
	s_mov_b32 s6, 0x3d000000
	s_waitcnt vmcnt(3)
	v_cvt_f32_f16_e32 v20, v2
	v_lshrrev_b32_e32 v2, 16, v2
	v_cvt_f32_f16_e32 v21, v3
	v_lshrrev_b32_e32 v3, 16, v3
	v_cvt_f32_f16_e32 v22, v4
	v_lshrrev_b32_e32 v4, 16, v4
	v_cvt_f32_f16_e32 v23, v5
	v_lshrrev_b32_e32 v5, 16, v5
	s_waitcnt vmcnt(2)
	v_cvt_f32_f16_e32 v24, v6
	v_lshrrev_b32_e32 v6, 16, v6
	v_cvt_f32_f16_e32 v25, v7
	v_lshrrev_b32_e32 v7, 16, v7
	v_cvt_f32_f16_e32 v26, v8
	v_lshrrev_b32_e32 v8, 16, v8
	v_cvt_f32_f16_e32 v27, v9
	v_lshrrev_b32_e32 v9, 16, v9
	;; [unrolled: 9-line block ×4, first 2 shown]
	v_cvt_f32_f16_e32 v2, v2
	v_cvt_f32_f16_e32 v3, v3
	;; [unrolled: 1-line block ×5, first 2 shown]
	v_add_f32_e32 v36, v20, v2
	v_cvt_f32_f16_e32 v7, v7
	v_cvt_f32_f16_e32 v8, v8
	;; [unrolled: 1-line block ×11, first 2 shown]
	v_and_b32_e32 v18, 1, v0
	v_dual_sub_f32 v2, v20, v2 :: v_dual_and_b32 v19, 2, v0
	v_add_f32_e32 v20, v21, v3
	v_sub_f32_e32 v3, v21, v3
	v_add_f32_e32 v21, v22, v4
	v_sub_f32_e32 v4, v22, v4
	;; [unrolled: 2-line block ×16, first 2 shown]
	v_add_f32_e32 v36, v2, v3
	v_dual_sub_f32 v2, v2, v3 :: v_dual_add_f32 v3, v21, v22
	v_dual_sub_f32 v21, v21, v22 :: v_dual_add_f32 v22, v4, v5
	;; [unrolled: 1-line block ×15, first 2 shown]
	v_sub_f32_e32 v3, v35, v3
	v_add_f32_e32 v35, v36, v22
	v_sub_f32_e32 v22, v36, v22
	v_add_f32_e32 v36, v20, v21
	v_dual_sub_f32 v20, v20, v21 :: v_dual_add_f32 v21, v2, v4
	v_sub_f32_e32 v2, v2, v4
	v_add_f32_e32 v4, v5, v7
	v_sub_f32_e32 v5, v5, v7
	v_add_f32_e32 v7, v24, v26
	;; [unrolled: 2-line block ×13, first 2 shown]
	v_dual_sub_f32 v4, v17, v4 :: v_dual_add_f32 v17, v35, v7
	v_sub_f32_e32 v7, v35, v7
	v_add_f32_e32 v35, v36, v26
	v_sub_f32_e32 v26, v36, v26
	v_add_f32_e32 v36, v21, v25
	;; [unrolled: 2-line block ×5, first 2 shown]
	v_dual_sub_f32 v20, v20, v23 :: v_dual_add_f32 v23, v2, v6
	v_sub_f32_e32 v2, v2, v6
	v_add_f32_e32 v6, v8, v12
	v_sub_f32_e32 v8, v8, v12
	v_add_f32_e32 v12, v11, v15
	v_sub_f32_e32 v11, v11, v15
	v_add_f32_e32 v15, v30, v34
	v_sub_f32_e32 v30, v30, v34
	v_add_f32_e32 v34, v29, v33
	v_sub_f32_e32 v29, v29, v33
	v_add_f32_e32 v33, v9, v13
	v_sub_f32_e32 v9, v9, v13
	v_add_f32_e32 v13, v28, v32
	v_sub_f32_e32 v28, v28, v32
	v_add_f32_e32 v32, v27, v31
	v_sub_f32_e32 v27, v27, v31
	v_add_f32_e32 v31, v10, v14
	v_sub_f32_e32 v10, v10, v14
	v_add_f32_e32 v14, v16, v6
	v_sub_f32_e32 v6, v16, v6
	v_add_f32_e32 v16, v17, v12
	v_dual_sub_f32 v12, v17, v12 :: v_dual_add_f32 v17, v35, v15
	v_sub_f32_e32 v15, v35, v15
	v_add_f32_e32 v35, v36, v34
	v_sub_f32_e32 v34, v36, v34
	v_add_f32_e32 v36, v25, v33
	;; [unrolled: 2-line block ×11, first 2 shown]
	v_sub_f32_e32 v22, v22, v28
	v_sub_f32_dpp v37, v16, v16 quad_perm:[1,0,3,2] row_mask:0xf bank_mask:0xf bound_ctrl:1
	v_add_f32_dpp v16, v16, v16 quad_perm:[1,0,3,2] row_mask:0xf bank_mask:0xf bound_ctrl:1
	v_sub_f32_dpp v38, v17, v17 quad_perm:[1,0,3,2] row_mask:0xf bank_mask:0xf bound_ctrl:1
	v_add_f32_dpp v17, v17, v17 quad_perm:[1,0,3,2] row_mask:0xf bank_mask:0xf bound_ctrl:1
	;; [unrolled: 2-line block ×5, first 2 shown]
	v_cmp_eq_u32_e32 vcc_lo, 0, v18
	v_add_f32_e32 v28, v20, v27
	v_dual_sub_f32 v20, v20, v27 :: v_dual_add_f32 v27, v2, v10
	v_sub_f32_e32 v2, v2, v10
	v_sub_f32_dpp v10, v14, v14 quad_perm:[1,0,3,2] row_mask:0xf bank_mask:0xf bound_ctrl:1
	v_add_f32_dpp v14, v14, v14 quad_perm:[1,0,3,2] row_mask:0xf bank_mask:0xf bound_ctrl:1
	v_sub_f32_dpp v40, v36, v36 quad_perm:[1,0,3,2] row_mask:0xf bank_mask:0xf bound_ctrl:1
	v_add_f32_dpp v36, v36, v36 quad_perm:[1,0,3,2] row_mask:0xf bank_mask:0xf bound_ctrl:1
	;; [unrolled: 2-line block ×9, first 2 shown]
	v_cndmask_b32_e32 v10, v10, v14, vcc_lo
	v_dual_cndmask_b32 v14, v37, v16 :: v_dual_cndmask_b32 v31, v44, v31
	v_dual_cndmask_b32 v16, v38, v17 :: v_dual_cndmask_b32 v27, v51, v27
	v_cndmask_b32_e32 v17, v39, v35, vcc_lo
	v_cndmask_b32_e32 v13, v42, v13, vcc_lo
	v_sub_f32_dpp v66, v20, v20 quad_perm:[1,0,3,2] row_mask:0xf bank_mask:0xf bound_ctrl:1
	v_add_f32_dpp v18, v20, v20 quad_perm:[1,0,3,2] row_mask:0xf bank_mask:0xf bound_ctrl:1
	v_sub_f32_dpp v20, v2, v2 quad_perm:[1,0,3,2] row_mask:0xf bank_mask:0xf bound_ctrl:1
	v_add_f32_dpp v2, v2, v2 quad_perm:[1,0,3,2] row_mask:0xf bank_mask:0xf bound_ctrl:1
	;; [unrolled: 2-line block ×4, first 2 shown]
	v_cndmask_b32_e32 v35, v40, v36, vcc_lo
	v_dual_cndmask_b32 v12, v53, v12 :: v_dual_cndmask_b32 v23, v59, v23
	v_dual_cndmask_b32 v4, v60, v4 :: v_dual_cndmask_b32 v21, v63, v21
	s_delay_alu instid0(VALU_DEP_4)
	v_dual_cndmask_b32 v26, v62, v26 :: v_dual_cndmask_b32 v3, v64, v3
	v_cndmask_b32_e32 v2, v20, v2, vcc_lo
	v_sub_f32_dpp v20, v10, v10 quad_perm:[2,3,0,1] row_mask:0xf bank_mask:0xf bound_ctrl:1
	v_add_f32_dpp v10, v10, v10 quad_perm:[2,3,0,1] row_mask:0xf bank_mask:0xf bound_ctrl:1
	v_sub_f32_dpp v36, v14, v14 quad_perm:[2,3,0,1] row_mask:0xf bank_mask:0xf bound_ctrl:1
	v_add_f32_dpp v14, v14, v14 quad_perm:[2,3,0,1] row_mask:0xf bank_mask:0xf bound_ctrl:1
	;; [unrolled: 2-line block ×3, first 2 shown]
	v_cmp_eq_u32_e64 s0, 0, v19
	v_sub_f32_dpp v61, v7, v7 quad_perm:[1,0,3,2] row_mask:0xf bank_mask:0xf bound_ctrl:1
	v_add_f32_dpp v7, v7, v7 quad_perm:[1,0,3,2] row_mask:0xf bank_mask:0xf bound_ctrl:1
	v_cndmask_b32_e32 v24, v58, v24, vcc_lo
	v_sub_f32_dpp v58, v23, v23 quad_perm:[2,3,0,1] row_mask:0xf bank_mask:0xf bound_ctrl:1
	v_add_f32_dpp v19, v23, v23 quad_perm:[2,3,0,1] row_mask:0xf bank_mask:0xf bound_ctrl:1
	v_sub_f32_dpp v23, v4, v4 quad_perm:[2,3,0,1] row_mask:0xf bank_mask:0xf bound_ctrl:1
	v_cndmask_b32_e32 v7, v61, v7, vcc_lo
	v_add_f32_dpp v4, v4, v4 quad_perm:[2,3,0,1] row_mask:0xf bank_mask:0xf bound_ctrl:1
	v_cndmask_b32_e64 v10, v20, v10, s0
	v_cndmask_b32_e64 v14, v36, v14, s0
	v_cndmask_b32_e64 v16, v37, v16, s0
	v_sub_f32_dpp v36, v26, v26 quad_perm:[2,3,0,1] row_mask:0xf bank_mask:0xf bound_ctrl:1
	v_add_f32_dpp v26, v26, v26 quad_perm:[2,3,0,1] row_mask:0xf bank_mask:0xf bound_ctrl:1
	v_sub_f32_dpp v37, v21, v21 quad_perm:[2,3,0,1] row_mask:0xf bank_mask:0xf bound_ctrl:1
	v_add_f32_dpp v21, v21, v21 quad_perm:[2,3,0,1] row_mask:0xf bank_mask:0xf bound_ctrl:1
	;; [unrolled: 2-line block ×3, first 2 shown]
	v_cndmask_b32_e32 v33, v41, v33, vcc_lo
	v_cndmask_b32_e64 v4, v23, v4, s0
	v_cndmask_b32_e64 v23, v36, v26, s0
	;; [unrolled: 1-line block ×3, first 2 shown]
	v_sub_f32_dpp v26, v3, v3 quad_perm:[2,3,0,1] row_mask:0xf bank_mask:0xf bound_ctrl:1
	v_add_f32_dpp v3, v3, v3 quad_perm:[2,3,0,1] row_mask:0xf bank_mask:0xf bound_ctrl:1
	v_mov_b32_dpp v37, v10 row_shl:4 row_mask:0xf bank_mask:0x5 bound_ctrl:1
	v_sub_f32_dpp v46, v11, v11 quad_perm:[1,0,3,2] row_mask:0xf bank_mask:0xf bound_ctrl:1
	v_add_f32_dpp v11, v11, v11 quad_perm:[1,0,3,2] row_mask:0xf bank_mask:0xf bound_ctrl:1
	v_cndmask_b32_e32 v32, v43, v32, vcc_lo
	v_sub_f32_dpp v38, v17, v17 quad_perm:[2,3,0,1] row_mask:0xf bank_mask:0xf bound_ctrl:1
	v_add_f32_dpp v17, v17, v17 quad_perm:[2,3,0,1] row_mask:0xf bank_mask:0xf bound_ctrl:1
	v_sub_f32_dpp v39, v35, v35 quad_perm:[2,3,0,1] row_mask:0xf bank_mask:0xf bound_ctrl:1
	v_cndmask_b32_e32 v11, v46, v11, vcc_lo
	v_add_f32_dpp v35, v35, v35 quad_perm:[2,3,0,1] row_mask:0xf bank_mask:0xf bound_ctrl:1
	v_sub_f32_dpp v40, v33, v33 quad_perm:[2,3,0,1] row_mask:0xf bank_mask:0xf bound_ctrl:1
	v_add_f32_dpp v33, v33, v33 quad_perm:[2,3,0,1] row_mask:0xf bank_mask:0xf bound_ctrl:1
	v_cndmask_b32_e64 v3, v26, v3, s0
	v_mov_b32_dpp v26, v14 row_shl:4 row_mask:0xf bank_mask:0x5 bound_ctrl:1
	v_mov_b32_dpp v37, v10 row_shr:4 row_mask:0xf bank_mask:0xa bound_ctrl:1
	v_sub_f32_dpp v42, v32, v32 quad_perm:[2,3,0,1] row_mask:0xf bank_mask:0xf bound_ctrl:1
	v_add_f32_dpp v32, v32, v32 quad_perm:[2,3,0,1] row_mask:0xf bank_mask:0xf bound_ctrl:1
	v_cndmask_b32_e64 v17, v38, v17, s0
	v_cndmask_b32_e64 v20, v39, v35, s0
	;; [unrolled: 1-line block ×3, first 2 shown]
	v_mov_b32_dpp v26, v14 row_shr:4 row_mask:0xf bank_mask:0xa bound_ctrl:1
	v_sub_f32_e32 v38, v37, v10
	v_add_f32_e32 v10, v10, v37
	v_mov_b32_dpp v37, v16 row_shl:4 row_mask:0xf bank_mask:0x5 bound_ctrl:1
	v_sub_f32_dpp v65, v22, v22 quad_perm:[1,0,3,2] row_mask:0xf bank_mask:0xf bound_ctrl:1
	v_add_f32_dpp v22, v22, v22 quad_perm:[1,0,3,2] row_mask:0xf bank_mask:0xf bound_ctrl:1
	v_cndmask_b32_e64 v32, v42, v32, s0
	v_sub_f32_dpp v35, v7, v7 quad_perm:[2,3,0,1] row_mask:0xf bank_mask:0xf bound_ctrl:1
	v_mov_b32_dpp v37, v16 row_shr:4 row_mask:0xf bank_mask:0xa bound_ctrl:1
	v_sub_f32_e32 v39, v26, v14
	v_add_f32_e32 v14, v14, v26
	v_mov_b32_dpp v26, v17 row_shl:4 row_mask:0xf bank_mask:0x5 bound_ctrl:1
	v_add_f32_dpp v7, v7, v7 quad_perm:[2,3,0,1] row_mask:0xf bank_mask:0xf bound_ctrl:1
	v_cndmask_b32_e32 v18, v66, v18, vcc_lo
	v_sub_f32_dpp v45, v8, v8 quad_perm:[1,0,3,2] row_mask:0xf bank_mask:0xf bound_ctrl:1
	v_add_f32_dpp v8, v8, v8 quad_perm:[1,0,3,2] row_mask:0xf bank_mask:0xf bound_ctrl:1
	v_mov_b32_dpp v26, v17 row_shr:4 row_mask:0xf bank_mask:0xa bound_ctrl:1
	v_cndmask_b32_e32 v22, v65, v22, vcc_lo
	v_cndmask_b32_e64 v7, v35, v7, s0
	v_sub_f32_dpp v47, v30, v30 quad_perm:[1,0,3,2] row_mask:0xf bank_mask:0xf bound_ctrl:1
	v_add_f32_dpp v30, v30, v30 quad_perm:[1,0,3,2] row_mask:0xf bank_mask:0xf bound_ctrl:1
	v_sub_f32_dpp v48, v29, v29 quad_perm:[1,0,3,2] row_mask:0xf bank_mask:0xf bound_ctrl:1
	v_sub_f32_dpp v35, v22, v22 quad_perm:[2,3,0,1] row_mask:0xf bank_mask:0xf bound_ctrl:1
	v_add_f32_dpp v22, v22, v22 quad_perm:[2,3,0,1] row_mask:0xf bank_mask:0xf bound_ctrl:1
	v_add_f32_dpp v29, v29, v29 quad_perm:[1,0,3,2] row_mask:0xf bank_mask:0xf bound_ctrl:1
	v_sub_f32_dpp v49, v9, v9 quad_perm:[1,0,3,2] row_mask:0xf bank_mask:0xf bound_ctrl:1
	v_add_f32_dpp v9, v9, v9 quad_perm:[1,0,3,2] row_mask:0xf bank_mask:0xf bound_ctrl:1
	v_sub_f32_dpp v50, v28, v28 quad_perm:[1,0,3,2] row_mask:0xf bank_mask:0xf bound_ctrl:1
	v_cndmask_b32_e64 v22, v35, v22, s0
	v_sub_f32_dpp v35, v2, v2 quad_perm:[2,3,0,1] row_mask:0xf bank_mask:0xf bound_ctrl:1
	v_add_f32_dpp v2, v2, v2 quad_perm:[2,3,0,1] row_mask:0xf bank_mask:0xf bound_ctrl:1
	v_add_f32_dpp v28, v28, v28 quad_perm:[1,0,3,2] row_mask:0xf bank_mask:0xf bound_ctrl:1
	v_sub_f32_dpp v52, v6, v6 quad_perm:[1,0,3,2] row_mask:0xf bank_mask:0xf bound_ctrl:1
	v_add_f32_dpp v6, v6, v6 quad_perm:[1,0,3,2] row_mask:0xf bank_mask:0xf bound_ctrl:1
	v_sub_f32_dpp v54, v15, v15 quad_perm:[1,0,3,2] row_mask:0xf bank_mask:0xf bound_ctrl:1
	v_cndmask_b32_e64 v2, v35, v2, s0
	v_sub_f32_e32 v35, v37, v16
	v_sub_f32_dpp v36, v18, v18 quad_perm:[2,3,0,1] row_mask:0xf bank_mask:0xf bound_ctrl:1
	v_add_f32_dpp v18, v18, v18 quad_perm:[2,3,0,1] row_mask:0xf bank_mask:0xf bound_ctrl:1
	v_add_f32_dpp v15, v15, v15 quad_perm:[1,0,3,2] row_mask:0xf bank_mask:0xf bound_ctrl:1
	v_sub_f32_dpp v55, v34, v34 quad_perm:[1,0,3,2] row_mask:0xf bank_mask:0xf bound_ctrl:1
	v_add_f32_dpp v34, v34, v34 quad_perm:[1,0,3,2] row_mask:0xf bank_mask:0xf bound_ctrl:1
	v_sub_f32_dpp v56, v25, v25 quad_perm:[1,0,3,2] row_mask:0xf bank_mask:0xf bound_ctrl:1
	;; [unrolled: 2-line block ×4, first 2 shown]
	v_add_f32_dpp v13, v13, v13 quad_perm:[2,3,0,1] row_mask:0xf bank_mask:0xf bound_ctrl:1
	v_cndmask_b32_e64 v18, v36, v18, s0
	v_and_b32_e32 v36, 4, v0
	v_dual_cndmask_b32 v8, v45, v8 :: v_dual_cndmask_b32 v29, v48, v29
	v_dual_cndmask_b32 v30, v47, v30 :: v_dual_cndmask_b32 v9, v49, v9
	;; [unrolled: 1-line block ×5, first 2 shown]
	v_cndmask_b32_e64 v13, v41, v13, s0
	v_add_f32_e32 v16, v16, v37
	v_sub_f32_e32 v37, v26, v17
	v_add_f32_e32 v17, v17, v26
	v_cmp_eq_u32_e32 vcc_lo, 0, v36
	v_mov_b32_dpp v36, v20 row_shl:4 row_mask:0xf bank_mask:0x5 bound_ctrl:1
	v_sub_f32_dpp v43, v31, v31 quad_perm:[2,3,0,1] row_mask:0xf bank_mask:0xf bound_ctrl:1
	v_add_f32_dpp v31, v31, v31 quad_perm:[2,3,0,1] row_mask:0xf bank_mask:0xf bound_ctrl:1
	v_sub_f32_dpp v44, v8, v8 quad_perm:[2,3,0,1] row_mask:0xf bank_mask:0xf bound_ctrl:1
	v_add_f32_dpp v8, v8, v8 quad_perm:[2,3,0,1] row_mask:0xf bank_mask:0xf bound_ctrl:1
	;; [unrolled: 2-line block ×3, first 2 shown]
	v_mov_b32_dpp v36, v20 row_shr:4 row_mask:0xf bank_mask:0xa bound_ctrl:1
	v_mov_b32_dpp v26, v13 row_shl:4 row_mask:0xf bank_mask:0x5 bound_ctrl:1
	v_sub_f32_dpp v46, v30, v30 quad_perm:[2,3,0,1] row_mask:0xf bank_mask:0xf bound_ctrl:1
	v_add_f32_dpp v30, v30, v30 quad_perm:[2,3,0,1] row_mask:0xf bank_mask:0xf bound_ctrl:1
	v_cndmask_b32_e64 v31, v43, v31, s0
	v_cndmask_b32_e64 v8, v44, v8, s0
	v_cndmask_b32_e64 v11, v45, v11, s0
	v_mov_b32_dpp v26, v13 row_shr:4 row_mask:0xf bank_mask:0xa bound_ctrl:1
	v_cndmask_b32_e32 v16, v35, v16, vcc_lo
	v_dual_sub_f32 v35, v36, v20 :: v_dual_cndmask_b32 v10, v38, v10
	v_mov_b32_dpp v38, v33 row_shl:4 row_mask:0xf bank_mask:0x5 bound_ctrl:1
	v_add_f32_e32 v20, v20, v36
	v_cndmask_b32_e64 v30, v46, v30, s0
	v_cndmask_b32_e32 v17, v37, v17, vcc_lo
	v_mov_b32_dpp v37, v32 row_shl:4 row_mask:0xf bank_mask:0x5 bound_ctrl:1
	v_mov_b32_dpp v38, v33 row_shr:4 row_mask:0xf bank_mask:0xa bound_ctrl:1
	v_cndmask_b32_e32 v20, v35, v20, vcc_lo
	v_mov_b32_dpp v35, v8 row_shl:4 row_mask:0xf bank_mask:0x5 bound_ctrl:1
	v_sub_f32_dpp v47, v29, v29 quad_perm:[2,3,0,1] row_mask:0xf bank_mask:0xf bound_ctrl:1
	v_mov_b32_dpp v37, v32 row_shr:4 row_mask:0xf bank_mask:0xa bound_ctrl:1
	v_add_f32_dpp v29, v29, v29 quad_perm:[2,3,0,1] row_mask:0xf bank_mask:0xf bound_ctrl:1
	v_sub_f32_dpp v48, v9, v9 quad_perm:[2,3,0,1] row_mask:0xf bank_mask:0xf bound_ctrl:1
	v_mov_b32_dpp v35, v8 row_shr:4 row_mask:0xf bank_mask:0xa bound_ctrl:1
	v_dual_sub_f32 v36, v38, v33 :: v_dual_add_f32 v33, v33, v38
	v_dual_sub_f32 v38, v26, v13 :: v_dual_add_f32 v13, v13, v26
	v_cndmask_b32_e64 v29, v47, v29, s0
	v_add_f32_dpp v9, v9, v9 quad_perm:[2,3,0,1] row_mask:0xf bank_mask:0xf bound_ctrl:1
	s_delay_alu instid0(VALU_DEP_4)
	v_dual_cndmask_b32 v26, v36, v33 :: v_dual_sub_f32 v33, v37, v32
	v_cndmask_b32_e32 v14, v39, v14, vcc_lo
	v_mov_b32_dpp v39, v31 row_shl:4 row_mask:0xf bank_mask:0x5 bound_ctrl:1
	v_sub_f32_dpp v49, v28, v28 quad_perm:[2,3,0,1] row_mask:0xf bank_mask:0xf bound_ctrl:1
	v_add_f32_dpp v28, v28, v28 quad_perm:[2,3,0,1] row_mask:0xf bank_mask:0xf bound_ctrl:1
	v_sub_f32_dpp v50, v27, v27 quad_perm:[2,3,0,1] row_mask:0xf bank_mask:0xf bound_ctrl:1
	v_add_f32_dpp v27, v27, v27 quad_perm:[2,3,0,1] row_mask:0xf bank_mask:0xf bound_ctrl:1
	v_mov_b32_dpp v39, v31 row_shr:4 row_mask:0xf bank_mask:0xa bound_ctrl:1
	v_sub_f32_dpp v51, v6, v6 quad_perm:[2,3,0,1] row_mask:0xf bank_mask:0xf bound_ctrl:1
	v_add_f32_dpp v6, v6, v6 quad_perm:[2,3,0,1] row_mask:0xf bank_mask:0xf bound_ctrl:1
	v_cndmask_b32_e64 v9, v48, v9, s0
	v_cndmask_b32_e64 v28, v49, v28, s0
	v_sub_f32_e32 v36, v39, v31
	v_add_f32_e32 v31, v31, v39
	v_cndmask_b32_e64 v27, v50, v27, s0
	v_cndmask_b32_e64 v6, v51, v6, s0
	v_mov_b32_dpp v39, v9 row_shl:4 row_mask:0xf bank_mask:0x5 bound_ctrl:1
	v_sub_f32_dpp v52, v12, v12 quad_perm:[2,3,0,1] row_mask:0xf bank_mask:0xf bound_ctrl:1
	v_cndmask_b32_e32 v31, v36, v31, vcc_lo
	v_mov_b32_dpp v36, v29 row_shl:4 row_mask:0xf bank_mask:0x5 bound_ctrl:1
	v_cndmask_b32_e32 v13, v38, v13, vcc_lo
	v_mov_b32_dpp v38, v30 row_shl:4 row_mask:0xf bank_mask:0x5 bound_ctrl:1
	v_add_f32_dpp v12, v12, v12 quad_perm:[2,3,0,1] row_mask:0xf bank_mask:0xf bound_ctrl:1
	v_sub_f32_dpp v53, v15, v15 quad_perm:[2,3,0,1] row_mask:0xf bank_mask:0xf bound_ctrl:1
	v_mov_b32_dpp v36, v29 row_shr:4 row_mask:0xf bank_mask:0xa bound_ctrl:1
	v_add_f32_e32 v32, v32, v37
	v_mov_b32_dpp v37, v11 row_shl:4 row_mask:0xf bank_mask:0x5 bound_ctrl:1
	v_mov_b32_dpp v38, v30 row_shr:4 row_mask:0xf bank_mask:0xa bound_ctrl:1
	v_add_f32_dpp v15, v15, v15 quad_perm:[2,3,0,1] row_mask:0xf bank_mask:0xf bound_ctrl:1
	v_mov_b32_dpp v39, v9 row_shr:4 row_mask:0xf bank_mask:0xa bound_ctrl:1
	v_sub_f32_dpp v54, v34, v34 quad_perm:[2,3,0,1] row_mask:0xf bank_mask:0xf bound_ctrl:1
	v_mov_b32_dpp v37, v11 row_shr:4 row_mask:0xf bank_mask:0xa bound_ctrl:1
	v_cndmask_b32_e32 v32, v33, v32, vcc_lo
	v_dual_sub_f32 v33, v35, v8 :: v_dual_add_f32 v8, v8, v35
	v_add_f32_dpp v34, v34, v34 quad_perm:[2,3,0,1] row_mask:0xf bank_mask:0xf bound_ctrl:1
	s_delay_alu instid0(VALU_DEP_4) | instskip(SKIP_4) | instid1(VALU_DEP_4)
	v_sub_f32_e32 v35, v37, v11
	v_add_f32_e32 v11, v11, v37
	v_sub_f32_e32 v37, v38, v30
	v_add_f32_e32 v30, v30, v38
	v_dual_cndmask_b32 v8, v33, v8 :: v_dual_sub_f32 v33, v36, v29
	v_cndmask_b32_e32 v11, v35, v11, vcc_lo
	v_mov_b32_dpp v35, v28 row_shl:4 row_mask:0xf bank_mask:0x5 bound_ctrl:1
	s_delay_alu instid0(VALU_DEP_4)
	v_cndmask_b32_e32 v30, v37, v30, vcc_lo
	v_mov_b32_dpp v37, v27 row_shl:4 row_mask:0xf bank_mask:0x5 bound_ctrl:1
	v_mov_b32_dpp v38, v6 row_shl:4 row_mask:0xf bank_mask:0x5 bound_ctrl:1
	v_sub_f32_dpp v55, v25, v25 quad_perm:[2,3,0,1] row_mask:0xf bank_mask:0xf bound_ctrl:1
	v_add_f32_dpp v25, v25, v25 quad_perm:[2,3,0,1] row_mask:0xf bank_mask:0xf bound_ctrl:1
	v_cndmask_b32_e64 v12, v52, v12, s0
	v_cndmask_b32_e64 v15, v53, v15, s0
	v_dual_add_f32 v29, v29, v36 :: v_dual_sub_f32 v36, v39, v9
	v_add_f32_e32 v9, v9, v39
	v_mov_b32_dpp v35, v28 row_shr:4 row_mask:0xf bank_mask:0xa bound_ctrl:1
	v_mov_b32_dpp v37, v27 row_shr:4 row_mask:0xf bank_mask:0xa bound_ctrl:1
	;; [unrolled: 1-line block ×3, first 2 shown]
	v_cndmask_b32_e64 v34, v54, v34, s0
	v_cndmask_b32_e64 v25, v55, v25, s0
	v_cndmask_b32_e32 v29, v33, v29, vcc_lo
	v_cndmask_b32_e32 v9, v36, v9, vcc_lo
	v_dual_sub_f32 v33, v35, v28 :: v_dual_add_f32 v28, v28, v35
	v_sub_f32_e32 v35, v37, v27
	v_mov_b32_dpp v36, v12 row_shl:4 row_mask:0xf bank_mask:0x5 bound_ctrl:1
	v_add_f32_e32 v27, v27, v37
	v_sub_f32_e32 v37, v38, v6
	v_add_f32_e32 v6, v6, v38
	v_mov_b32_dpp v39, v15 row_shl:4 row_mask:0xf bank_mask:0x5 bound_ctrl:1
	v_sub_f32_dpp v56, v5, v5 quad_perm:[2,3,0,1] row_mask:0xf bank_mask:0xf bound_ctrl:1
	v_add_f32_dpp v5, v5, v5 quad_perm:[2,3,0,1] row_mask:0xf bank_mask:0xf bound_ctrl:1
	v_sub_f32_dpp v57, v24, v24 quad_perm:[2,3,0,1] row_mask:0xf bank_mask:0xf bound_ctrl:1
	v_add_f32_dpp v24, v24, v24 quad_perm:[2,3,0,1] row_mask:0xf bank_mask:0xf bound_ctrl:1
	v_mov_b32_dpp v36, v12 row_shr:4 row_mask:0xf bank_mask:0xa bound_ctrl:1
	v_dual_cndmask_b32 v28, v33, v28 :: v_dual_cndmask_b32 v27, v35, v27
	v_mov_b32_dpp v39, v15 row_shr:4 row_mask:0xf bank_mask:0xa bound_ctrl:1
	s_delay_alu instid0(VALU_DEP_3)
	v_dual_cndmask_b32 v6, v37, v6 :: v_dual_sub_f32 v33, v36, v12
	v_mov_b32_dpp v35, v34 row_shl:4 row_mask:0xf bank_mask:0x5 bound_ctrl:1
	v_mov_b32_dpp v37, v25 row_shl:4 row_mask:0xf bank_mask:0x5 bound_ctrl:1
	v_cndmask_b32_e64 v5, v56, v5, s0
	v_cndmask_b32_e64 v24, v57, v24, s0
	v_add_f32_e32 v12, v12, v36
	v_mov_b32_dpp v35, v34 row_shr:4 row_mask:0xf bank_mask:0xa bound_ctrl:1
	v_mov_b32_dpp v37, v25 row_shr:4 row_mask:0xf bank_mask:0xa bound_ctrl:1
	v_sub_f32_e32 v36, v39, v15
	v_add_f32_e32 v15, v15, v39
	v_cndmask_b32_e64 v19, v58, v19, s0
	v_mov_b32_dpp v38, v5 row_shl:4 row_mask:0xf bank_mask:0x5 bound_ctrl:1
	v_dual_cndmask_b32 v12, v33, v12 :: v_dual_sub_f32 v33, v35, v34
	v_dual_add_f32 v34, v34, v35 :: v_dual_sub_f32 v35, v37, v25
	v_cndmask_b32_e32 v15, v36, v15, vcc_lo
	v_mov_b32_dpp v36, v24 row_shl:4 row_mask:0xf bank_mask:0x5 bound_ctrl:1
	v_mov_b32_dpp v38, v5 row_shr:4 row_mask:0xf bank_mask:0xa bound_ctrl:1
	v_mov_b32_dpp v39, v19 row_shl:4 row_mask:0xf bank_mask:0x5 bound_ctrl:1
	v_cndmask_b32_e32 v33, v33, v34, vcc_lo
	s_delay_alu instid0(VALU_DEP_4) | instskip(SKIP_3) | instid1(VALU_DEP_4)
	v_mov_b32_dpp v36, v24 row_shr:4 row_mask:0xf bank_mask:0xa bound_ctrl:1
	v_add_f32_e32 v25, v25, v37
	v_sub_f32_e32 v37, v38, v5
	v_mov_b32_dpp v39, v19 row_shr:4 row_mask:0xf bank_mask:0xa bound_ctrl:1
	v_dual_add_f32 v5, v5, v38 :: v_dual_sub_f32 v34, v36, v24
	s_delay_alu instid0(VALU_DEP_4) | instskip(SKIP_4) | instid1(VALU_DEP_4)
	v_cndmask_b32_e32 v25, v35, v25, vcc_lo
	v_mov_b32_dpp v35, v4 row_shl:4 row_mask:0xf bank_mask:0x5 bound_ctrl:1
	v_add_f32_e32 v24, v24, v36
	v_sub_f32_e32 v36, v39, v19
	v_mov_b32_dpp v38, v23 row_shl:4 row_mask:0xf bank_mask:0x5 bound_ctrl:1
	v_mov_b32_dpp v35, v4 row_shr:4 row_mask:0xf bank_mask:0xa bound_ctrl:1
	v_cndmask_b32_e32 v5, v37, v5, vcc_lo
	v_mov_b32_dpp v37, v7 row_shl:4 row_mask:0xf bank_mask:0x5 bound_ctrl:1
	s_delay_alu instid0(VALU_DEP_4)
	v_mov_b32_dpp v38, v23 row_shr:4 row_mask:0xf bank_mask:0xa bound_ctrl:1
	v_cndmask_b32_e32 v24, v34, v24, vcc_lo
	v_sub_f32_e32 v34, v35, v4
	v_add_f32_e32 v4, v4, v35
	v_mov_b32_dpp v37, v7 row_shr:4 row_mask:0xf bank_mask:0xa bound_ctrl:1
	v_add_f32_e32 v19, v19, v39
	v_mov_b32_dpp v39, v3 row_shl:4 row_mask:0xf bank_mask:0x5 bound_ctrl:1
	s_delay_alu instid0(VALU_DEP_3)
	v_dual_cndmask_b32 v4, v34, v4 :: v_dual_sub_f32 v35, v37, v7
	v_add_f32_e32 v7, v7, v37
	v_sub_f32_e32 v37, v38, v23
	v_add_f32_e32 v23, v23, v38
	v_mov_b32_dpp v38, v2 row_shl:4 row_mask:0xf bank_mask:0x5 bound_ctrl:1
	v_mov_b32_dpp v39, v3 row_shr:4 row_mask:0xf bank_mask:0xa bound_ctrl:1
	s_delay_alu instid0(VALU_DEP_2) | instskip(SKIP_4) | instid1(VALU_DEP_3)
	v_mov_b32_dpp v38, v2 row_shr:4 row_mask:0xf bank_mask:0xa bound_ctrl:1
	v_cndmask_b32_e32 v7, v35, v7, vcc_lo
	v_mov_b32_dpp v35, v22 row_shl:4 row_mask:0xf bank_mask:0x5 bound_ctrl:1
	v_cndmask_b32_e32 v23, v37, v23, vcc_lo
	v_mov_b32_dpp v37, v18 row_shl:4 row_mask:0xf bank_mask:0x5 bound_ctrl:1
	v_mov_b32_dpp v35, v22 row_shr:4 row_mask:0xf bank_mask:0xa bound_ctrl:1
	v_cndmask_b32_e32 v19, v36, v19, vcc_lo
	v_mov_b32_dpp v36, v21 row_shl:4 row_mask:0xf bank_mask:0x5 bound_ctrl:1
	s_delay_alu instid0(VALU_DEP_4) | instskip(NEXT) | instid1(VALU_DEP_2)
	v_mov_b32_dpp v37, v18 row_shr:4 row_mask:0xf bank_mask:0xa bound_ctrl:1
	v_mov_b32_dpp v36, v21 row_shr:4 row_mask:0xf bank_mask:0xa bound_ctrl:1
	s_delay_alu instid0(VALU_DEP_1) | instskip(NEXT) | instid1(VALU_DEP_1)
	v_dual_sub_f32 v34, v36, v21 :: v_dual_add_f32 v21, v21, v36
	v_dual_sub_f32 v36, v39, v3 :: v_dual_cndmask_b32 v21, v34, v21
	v_sub_f32_e32 v34, v35, v22
	v_add_f32_e32 v22, v22, v35
	v_add_f32_e32 v3, v3, v39
	v_dual_sub_f32 v35, v37, v18 :: v_dual_add_f32 v18, v18, v37
	s_delay_alu instid0(VALU_DEP_3) | instskip(NEXT) | instid1(VALU_DEP_3)
	v_dual_cndmask_b32 v22, v34, v22 :: v_dual_and_b32 v37, 8, v0
	v_dual_cndmask_b32 v3, v36, v3 :: v_dual_and_b32 v0, 16, v0
	v_sub_f32_e32 v36, v38, v2
	v_add_f32_e32 v2, v2, v38
	v_sub_f32_dpp v38, v10, v10 row_ror:8 row_mask:0xf bank_mask:0xf bound_ctrl:1
	v_add_f32_dpp v10, v10, v10 row_ror:8 row_mask:0xf bank_mask:0xf bound_ctrl:1
	v_cndmask_b32_e32 v18, v35, v18, vcc_lo
	v_cmp_eq_u32_e64 s0, 0, v37
	v_sub_f32_dpp v35, v16, v16 row_ror:8 row_mask:0xf bank_mask:0xf bound_ctrl:1
	v_add_f32_dpp v16, v16, v16 row_ror:8 row_mask:0xf bank_mask:0xf bound_ctrl:1
	v_cndmask_b32_e32 v2, v36, v2, vcc_lo
	v_sub_f32_dpp v34, v14, v14 row_ror:8 row_mask:0xf bank_mask:0xf bound_ctrl:1
	v_cndmask_b32_e64 v10, v38, v10, s0
	v_sub_f32_dpp v38, v26, v26 row_ror:8 row_mask:0xf bank_mask:0xf bound_ctrl:1
	v_add_f32_dpp v26, v26, v26 row_ror:8 row_mask:0xf bank_mask:0xf bound_ctrl:1
	v_cndmask_b32_e64 v16, v35, v16, s0
	v_sub_f32_dpp v35, v32, v32 row_ror:8 row_mask:0xf bank_mask:0xf bound_ctrl:1
	v_add_f32_dpp v32, v32, v32 row_ror:8 row_mask:0xf bank_mask:0xf bound_ctrl:1
	v_add_f32_dpp v14, v14, v14 row_ror:8 row_mask:0xf bank_mask:0xf bound_ctrl:1
	v_cndmask_b32_e64 v26, v38, v26, s0
	v_sub_f32_dpp v38, v11, v11 row_ror:8 row_mask:0xf bank_mask:0xf bound_ctrl:1
	v_add_f32_dpp v11, v11, v11 row_ror:8 row_mask:0xf bank_mask:0xf bound_ctrl:1
	v_cndmask_b32_e64 v32, v35, v32, s0
	v_sub_f32_dpp v35, v29, v29 row_ror:8 row_mask:0xf bank_mask:0xf bound_ctrl:1
	v_add_f32_dpp v29, v29, v29 row_ror:8 row_mask:0xf bank_mask:0xf bound_ctrl:1
	v_sub_f32_dpp v36, v17, v17 row_ror:8 row_mask:0xf bank_mask:0xf bound_ctrl:1
	v_cndmask_b32_e64 v11, v38, v11, s0
	v_sub_f32_dpp v38, v27, v27 row_ror:8 row_mask:0xf bank_mask:0xf bound_ctrl:1
	v_add_f32_dpp v27, v27, v27 row_ror:8 row_mask:0xf bank_mask:0xf bound_ctrl:1
	v_cndmask_b32_e64 v29, v35, v29, s0
	v_sub_f32_dpp v35, v12, v12 row_ror:8 row_mask:0xf bank_mask:0xf bound_ctrl:1
	v_add_f32_dpp v12, v12, v12 row_ror:8 row_mask:0xf bank_mask:0xf bound_ctrl:1
	v_add_f32_dpp v17, v17, v17 row_ror:8 row_mask:0xf bank_mask:0xf bound_ctrl:1
	v_cndmask_b32_e64 v27, v38, v27, s0
	v_sub_f32_dpp v38, v25, v25 row_ror:8 row_mask:0xf bank_mask:0xf bound_ctrl:1
	v_add_f32_dpp v25, v25, v25 row_ror:8 row_mask:0xf bank_mask:0xf bound_ctrl:1
	v_cndmask_b32_e64 v12, v35, v12, s0
	v_sub_f32_dpp v35, v24, v24 row_ror:8 row_mask:0xf bank_mask:0xf bound_ctrl:1
	v_add_f32_dpp v24, v24, v24 row_ror:8 row_mask:0xf bank_mask:0xf bound_ctrl:1
	v_cndmask_b32_e64 v14, v34, v14, s0
	v_cndmask_b32_e64 v25, v38, v25, s0
	v_sub_f32_dpp v38, v7, v7 row_ror:8 row_mask:0xf bank_mask:0xf bound_ctrl:1
	v_add_f32_dpp v7, v7, v7 row_ror:8 row_mask:0xf bank_mask:0xf bound_ctrl:1
	v_cndmask_b32_e64 v24, v35, v24, s0
	v_sub_f32_dpp v35, v21, v21 row_ror:8 row_mask:0xf bank_mask:0xf bound_ctrl:1
	v_add_f32_dpp v21, v21, v21 row_ror:8 row_mask:0xf bank_mask:0xf bound_ctrl:1
	v_cndmask_b32_e64 v17, v36, v17, s0
	v_cndmask_b32_e64 v7, v38, v7, s0
	v_sub_f32_dpp v38, v18, v18 row_ror:8 row_mask:0xf bank_mask:0xf bound_ctrl:1
	v_add_f32_dpp v18, v18, v18 row_ror:8 row_mask:0xf bank_mask:0xf bound_ctrl:1
	v_cndmask_b32_e64 v21, v35, v21, s0
	v_permlanex16_b32 v35, v10, s1, 0xfedcba98 op_sel:[1,1]
	v_sub_f32_dpp v34, v13, v13 row_ror:8 row_mask:0xf bank_mask:0xf bound_ctrl:1
	v_add_f32_dpp v13, v13, v13 row_ror:8 row_mask:0xf bank_mask:0xf bound_ctrl:1
	v_cndmask_b32_e64 v18, v38, v18, s0
	v_sub_f32_dpp v36, v31, v31 row_ror:8 row_mask:0xf bank_mask:0xf bound_ctrl:1
	v_sub_f32_e32 v38, v35, v10
	v_sub_f32_dpp v37, v20, v20 row_ror:8 row_mask:0xf bank_mask:0xf bound_ctrl:1
	v_add_f32_dpp v20, v20, v20 row_ror:8 row_mask:0xf bank_mask:0xf bound_ctrl:1
	v_add_f32_dpp v31, v31, v31 row_ror:8 row_mask:0xf bank_mask:0xf bound_ctrl:1
	v_cndmask_b32_e64 v13, v34, v13, s0
	v_sub_f32_dpp v34, v30, v30 row_ror:8 row_mask:0xf bank_mask:0xf bound_ctrl:1
	v_add_f32_dpp v30, v30, v30 row_ror:8 row_mask:0xf bank_mask:0xf bound_ctrl:1
	v_cndmask_b32_e64 v20, v37, v20, s0
	v_sub_f32_dpp v37, v8, v8 row_ror:8 row_mask:0xf bank_mask:0xf bound_ctrl:1
	;; [unrolled: 3-line block ×3, first 2 shown]
	v_add_f32_dpp v9, v9, v9 row_ror:8 row_mask:0xf bank_mask:0xf bound_ctrl:1
	v_cndmask_b32_e64 v30, v34, v30, s0
	v_cndmask_b32_e64 v8, v37, v8, s0
	v_sub_f32_dpp v37, v28, v28 row_ror:8 row_mask:0xf bank_mask:0xf bound_ctrl:1
	v_add_f32_dpp v28, v28, v28 row_ror:8 row_mask:0xf bank_mask:0xf bound_ctrl:1
	v_cndmask_b32_e64 v9, v36, v9, s0
	v_sub_f32_dpp v34, v6, v6 row_ror:8 row_mask:0xf bank_mask:0xf bound_ctrl:1
	v_add_f32_dpp v6, v6, v6 row_ror:8 row_mask:0xf bank_mask:0xf bound_ctrl:1
	v_sub_f32_dpp v36, v15, v15 row_ror:8 row_mask:0xf bank_mask:0xf bound_ctrl:1
	v_cndmask_b32_e64 v28, v37, v28, s0
	v_add_f32_dpp v15, v15, v15 row_ror:8 row_mask:0xf bank_mask:0xf bound_ctrl:1
	v_sub_f32_dpp v37, v33, v33 row_ror:8 row_mask:0xf bank_mask:0xf bound_ctrl:1
	v_add_f32_dpp v33, v33, v33 row_ror:8 row_mask:0xf bank_mask:0xf bound_ctrl:1
	v_cndmask_b32_e64 v6, v34, v6, s0
	v_sub_f32_dpp v34, v5, v5 row_ror:8 row_mask:0xf bank_mask:0xf bound_ctrl:1
	v_cndmask_b32_e64 v15, v36, v15, s0
	v_add_f32_dpp v5, v5, v5 row_ror:8 row_mask:0xf bank_mask:0xf bound_ctrl:1
	v_cndmask_b32_e64 v33, v37, v33, s0
	v_sub_f32_dpp v36, v19, v19 row_ror:8 row_mask:0xf bank_mask:0xf bound_ctrl:1
	v_add_f32_dpp v19, v19, v19 row_ror:8 row_mask:0xf bank_mask:0xf bound_ctrl:1
	v_sub_f32_dpp v37, v4, v4 row_ror:8 row_mask:0xf bank_mask:0xf bound_ctrl:1
	v_add_f32_dpp v4, v4, v4 row_ror:8 row_mask:0xf bank_mask:0xf bound_ctrl:1
	v_cndmask_b32_e64 v5, v34, v5, s0
	v_sub_f32_dpp v34, v23, v23 row_ror:8 row_mask:0xf bank_mask:0xf bound_ctrl:1
	v_cndmask_b32_e64 v19, v36, v19, s0
	v_add_f32_dpp v23, v23, v23 row_ror:8 row_mask:0xf bank_mask:0xf bound_ctrl:1
	v_cndmask_b32_e64 v4, v37, v4, s0
	v_sub_f32_dpp v36, v3, v3 row_ror:8 row_mask:0xf bank_mask:0xf bound_ctrl:1
	v_add_f32_dpp v3, v3, v3 row_ror:8 row_mask:0xf bank_mask:0xf bound_ctrl:1
	v_sub_f32_dpp v37, v22, v22 row_ror:8 row_mask:0xf bank_mask:0xf bound_ctrl:1
	v_add_f32_dpp v22, v22, v22 row_ror:8 row_mask:0xf bank_mask:0xf bound_ctrl:1
	v_cndmask_b32_e64 v23, v34, v23, s0
	v_sub_f32_dpp v34, v2, v2 row_ror:8 row_mask:0xf bank_mask:0xf bound_ctrl:1
	v_cndmask_b32_e64 v3, v36, v3, s0
	v_add_f32_dpp v2, v2, v2 row_ror:8 row_mask:0xf bank_mask:0xf bound_ctrl:1
	v_cndmask_b32_e64 v22, v37, v22, s0
	v_permlanex16_b32 v36, v14, s1, 0xfedcba98 op_sel:[1,1]
	v_permlanex16_b32 v37, v16, s1, 0xfedcba98 op_sel:[1,1]
	v_add_f32_e32 v10, v10, v35
	v_cmp_eq_u32_e32 vcc_lo, 0, v0
	v_cndmask_b32_e64 v2, v34, v2, s0
	v_dual_sub_f32 v35, v36, v14 :: v_dual_add_f32 v14, v14, v36
	v_sub_f32_e32 v36, v37, v16
	v_permlanex16_b32 v34, v20, s1, 0xfedcba98 op_sel:[1,1]
	v_add_f32_e32 v0, v16, v37
	v_permlanex16_b32 v16, v17, s1, 0xfedcba98 op_sel:[1,1]
	v_cndmask_b32_e32 v14, v35, v14, vcc_lo
	s_add_u32 s0, s4, s8
	v_dual_sub_f32 v37, v34, v20 :: v_dual_add_f32 v20, v20, v34
	s_delay_alu instid0(VALU_DEP_3)
	v_sub_f32_e32 v35, v16, v17
	v_cndmask_b32_e32 v0, v36, v0, vcc_lo
	v_permlanex16_b32 v36, v26, s1, 0xfedcba98 op_sel:[1,1]
	v_add_f32_e32 v16, v17, v16
	v_permlanex16_b32 v17, v13, s1, 0xfedcba98 op_sel:[1,1]
	v_cndmask_b32_e32 v10, v38, v10, vcc_lo
	s_delay_alu instid0(VALU_DEP_4) | instskip(SKIP_1) | instid1(VALU_DEP_4)
	v_sub_f32_e32 v34, v36, v26
	v_add_f32_e32 v26, v26, v36
	v_sub_f32_e32 v36, v17, v13
	v_add_f32_e32 v13, v13, v17
	v_permlanex16_b32 v17, v32, s1, 0xfedcba98 op_sel:[1,1]
	v_cndmask_b32_e32 v16, v35, v16, vcc_lo
	v_cndmask_b32_e32 v26, v34, v26, vcc_lo
	v_permlanex16_b32 v34, v31, s1, 0xfedcba98 op_sel:[1,1]
	v_cndmask_b32_e32 v13, v36, v13, vcc_lo
	v_sub_f32_e32 v35, v17, v32
	v_permlanex16_b32 v36, v8, s1, 0xfedcba98 op_sel:[1,1]
	v_add_f32_e32 v17, v32, v17
	v_permlanex16_b32 v32, v11, s1, 0xfedcba98 op_sel:[1,1]
	v_dual_cndmask_b32 v20, v37, v20 :: v_dual_sub_f32 v37, v34, v31
	v_add_f32_e32 v31, v31, v34
	s_delay_alu instid0(VALU_DEP_4) | instskip(SKIP_3) | instid1(VALU_DEP_3)
	v_dual_cndmask_b32 v17, v35, v17 :: v_dual_sub_f32 v34, v36, v8
	v_add_f32_e32 v8, v8, v36
	v_dual_sub_f32 v36, v32, v11 :: v_dual_add_f32 v11, v11, v32
	v_permlanex16_b32 v32, v30, s1, 0xfedcba98 op_sel:[1,1]
	v_dual_cndmask_b32 v31, v37, v31 :: v_dual_cndmask_b32 v34, v34, v8
	s_delay_alu instid0(VALU_DEP_3) | instskip(SKIP_4) | instid1(VALU_DEP_4)
	v_cndmask_b32_e32 v8, v36, v11, vcc_lo
	v_permlanex16_b32 v11, v29, s1, 0xfedcba98 op_sel:[1,1]
	v_permlanex16_b32 v36, v9, s1, 0xfedcba98 op_sel:[1,1]
	v_dual_sub_f32 v35, v32, v30 :: v_dual_add_f32 v30, v30, v32
	v_permlanex16_b32 v32, v28, s1, 0xfedcba98 op_sel:[1,1]
	v_sub_f32_e32 v37, v11, v29
	v_add_f32_e32 v11, v29, v11
	v_sub_f32_e32 v29, v36, v9
	v_dual_add_f32 v9, v9, v36 :: v_dual_cndmask_b32 v30, v35, v30
	s_delay_alu instid0(VALU_DEP_3) | instskip(NEXT) | instid1(VALU_DEP_2)
	v_cndmask_b32_e32 v11, v37, v11, vcc_lo
	v_cndmask_b32_e32 v9, v29, v9, vcc_lo
	v_permlanex16_b32 v29, v6, s1, 0xfedcba98 op_sel:[1,1]
	v_sub_f32_e32 v36, v32, v28
	v_add_f32_e32 v28, v28, v32
	v_permlanex16_b32 v32, v27, s1, 0xfedcba98 op_sel:[1,1]
	s_delay_alu instid0(VALU_DEP_4) | instskip(NEXT) | instid1(VALU_DEP_2)
	v_dual_sub_f32 v37, v29, v6 :: v_dual_add_f32 v6, v6, v29
	v_sub_f32_e32 v35, v32, v27
	v_add_f32_e32 v27, v27, v32
	v_permlanex16_b32 v32, v15, s1, 0xfedcba98 op_sel:[1,1]
	s_delay_alu instid0(VALU_DEP_2) | instskip(SKIP_1) | instid1(VALU_DEP_1)
	v_dual_cndmask_b32 v27, v35, v27 :: v_dual_cndmask_b32 v28, v36, v28
	v_permlanex16_b32 v36, v12, s1, 0xfedcba98 op_sel:[1,1]
	v_sub_f32_e32 v29, v36, v12
	v_add_f32_e32 v12, v12, v36
	v_dual_sub_f32 v36, v32, v15 :: v_dual_add_f32 v15, v15, v32
	v_permlanex16_b32 v32, v33, s1, 0xfedcba98 op_sel:[1,1]
	v_cndmask_b32_e32 v6, v37, v6, vcc_lo
	s_delay_alu instid0(VALU_DEP_3) | instskip(SKIP_1) | instid1(VALU_DEP_4)
	v_dual_cndmask_b32 v29, v29, v12 :: v_dual_cndmask_b32 v12, v36, v15
	v_permlanex16_b32 v15, v25, s1, 0xfedcba98 op_sel:[1,1]
	v_sub_f32_e32 v35, v32, v33
	v_permlanex16_b32 v36, v5, s1, 0xfedcba98 op_sel:[1,1]
	v_add_f32_e32 v32, v33, v32
	v_permlanex16_b32 v33, v24, s1, 0xfedcba98 op_sel:[1,1]
	v_sub_f32_e32 v37, v15, v25
	v_add_f32_e32 v15, v25, v15
	v_sub_f32_e32 v25, v36, v5
	v_add_f32_e32 v5, v5, v36
	;; [unrolled: 2-line block ×3, first 2 shown]
	v_permlanex16_b32 v33, v19, s1, 0xfedcba98 op_sel:[1,1]
	v_dual_cndmask_b32 v32, v35, v32 :: v_dual_cndmask_b32 v15, v37, v15
	v_fma_mixlo_f16 v6, v6, s6, 0
	s_delay_alu instid0(VALU_DEP_3)
	v_sub_f32_e32 v35, v33, v19
	v_add_f32_e32 v19, v19, v33
	v_dual_cndmask_b32 v25, v25, v5 :: v_dual_cndmask_b32 v24, v36, v24
	v_permlanex16_b32 v5, v4, s1, 0xfedcba98 op_sel:[1,1]
	v_permlanex16_b32 v36, v7, s1, 0xfedcba98 op_sel:[1,1]
	v_permlanex16_b32 v33, v23, s1, 0xfedcba98 op_sel:[1,1]
	v_fma_mixhi_f16 v6, v29, s6, 0
	s_delay_alu instid0(VALU_DEP_4) | instskip(NEXT) | instid1(VALU_DEP_4)
	v_dual_sub_f32 v37, v5, v4 :: v_dual_add_f32 v4, v4, v5
	v_sub_f32_e32 v5, v36, v7
	s_delay_alu instid0(VALU_DEP_4)
	v_dual_add_f32 v7, v7, v36 :: v_dual_sub_f32 v36, v33, v23
	v_add_f32_e32 v23, v23, v33
	v_cndmask_b32_e32 v19, v35, v19, vcc_lo
	v_permlanex16_b32 v33, v21, s1, 0xfedcba98 op_sel:[1,1]
	v_cndmask_b32_e32 v35, v37, v4, vcc_lo
	v_cndmask_b32_e32 v37, v5, v7, vcc_lo
	v_permlanex16_b32 v4, v3, s1, 0xfedcba98 op_sel:[1,1]
	v_permlanex16_b32 v7, v22, s1, 0xfedcba98 op_sel:[1,1]
	v_cndmask_b32_e32 v23, v36, v23, vcc_lo
	s_delay_alu instid0(VALU_DEP_3) | instskip(NEXT) | instid1(VALU_DEP_3)
	v_dual_sub_f32 v36, v4, v3 :: v_dual_add_f32 v3, v3, v4
	v_dual_sub_f32 v4, v7, v22 :: v_dual_add_f32 v7, v22, v7
	v_sub_f32_e32 v5, v33, v21
	v_add_f32_e32 v21, v21, v33
	v_permlanex16_b32 v33, v18, s1, 0xfedcba98 op_sel:[1,1]
	v_cndmask_b32_e32 v36, v36, v3, vcc_lo
	v_cndmask_b32_e32 v38, v4, v7, vcc_lo
	v_fma_mixlo_f16 v4, v20, s6, 0
	v_fma_mixlo_f16 v3, v0, s6, 0
	v_sub_f32_e32 v22, v33, v18
	v_add_f32_e32 v18, v18, v33
	v_permlanex16_b32 v33, v2, s1, 0xfedcba98 op_sel:[1,1]
	v_fma_mixhi_f16 v4, v26, s6, 0
	v_fma_mixhi_f16 v3, v16, s6, 0
	s_addc_u32 s1, s5, s9
	v_cndmask_b32_e32 v18, v22, v18, vcc_lo
	v_dual_sub_f32 v7, v33, v2 :: v_dual_add_f32 v22, v2, v33
	v_fma_mixlo_f16 v2, v10, s6, 0
	s_lshl_b32 s2, s10, 11
	s_and_b32 s1, s1, 0xffff
	v_fma_mixlo_f16 v10, v35, s6, 0
	v_dual_cndmask_b32 v0, v7, v22 :: v_dual_cndmask_b32 v21, v5, v21
	v_fma_mixlo_f16 v5, v13, s6, 0
	v_fma_mixhi_f16 v2, v14, s6, 0
	v_fma_mixlo_f16 v7, v12, s6, 0
	v_fma_mixlo_f16 v13, v18, s6, 0
	;; [unrolled: 1-line block ×3, first 2 shown]
	v_fma_mixhi_f16 v5, v17, s6, 0
	v_fma_mixhi_f16 v10, v37, s6, 0
	;; [unrolled: 1-line block ×5, first 2 shown]
	buffer_store_b128 v[2:5], v1, s[0:3], 0 offen
	v_fma_mixlo_f16 v4, v11, s6, 0
	v_fma_mixlo_f16 v5, v28, s6, 0
	;; [unrolled: 1-line block ×5, first 2 shown]
	v_fma_mixhi_f16 v4, v9, s6, 0
	v_fma_mixlo_f16 v9, v24, s6, 0
	v_fma_mixlo_f16 v11, v23, s6, 0
	v_fma_mixhi_f16 v5, v27, s6, 0
	v_fma_mixhi_f16 v3, v30, s6, 0
	;; [unrolled: 1-line block ×6, first 2 shown]
	;;#ASMSTART
	s_nop 0
	;;#ASMEND
	buffer_store_b128 v[2:5], v1, s[0:3], 16 offen
	;;#ASMSTART
	s_nop 0
	;;#ASMEND
	buffer_store_b128 v[6:9], v1, s[0:3], 32 offen
	;; [unrolled: 4-line block ×3, first 2 shown]
	;;#ASMSTART
	s_nop 0
	;;#ASMEND
	s_nop 0
	s_sendmsg sendmsg(MSG_DEALLOC_VGPRS)
	s_endpgm
	.section	.rodata,"a",@progbits
	.p2align	6, 0x0
	.amdhsa_kernel _ZN5aiter50hadamard_rotate_activation_fp4quant_inplace_kernelIDF16_Li1024ELb0ELi32EEEvPT_PKS1_iii
		.amdhsa_group_segment_fixed_size 0
		.amdhsa_private_segment_fixed_size 0
		.amdhsa_kernarg_size 28
		.amdhsa_user_sgpr_count 15
		.amdhsa_user_sgpr_dispatch_ptr 0
		.amdhsa_user_sgpr_queue_ptr 0
		.amdhsa_user_sgpr_kernarg_segment_ptr 1
		.amdhsa_user_sgpr_dispatch_id 0
		.amdhsa_user_sgpr_private_segment_size 0
		.amdhsa_wavefront_size32 1
		.amdhsa_uses_dynamic_stack 0
		.amdhsa_enable_private_segment 0
		.amdhsa_system_sgpr_workgroup_id_x 1
		.amdhsa_system_sgpr_workgroup_id_y 0
		.amdhsa_system_sgpr_workgroup_id_z 0
		.amdhsa_system_sgpr_workgroup_info 0
		.amdhsa_system_vgpr_workitem_id 0
		.amdhsa_next_free_vgpr 67
		.amdhsa_next_free_sgpr 16
		.amdhsa_reserve_vcc 1
		.amdhsa_float_round_mode_32 0
		.amdhsa_float_round_mode_16_64 0
		.amdhsa_float_denorm_mode_32 3
		.amdhsa_float_denorm_mode_16_64 3
		.amdhsa_dx10_clamp 1
		.amdhsa_ieee_mode 1
		.amdhsa_fp16_overflow 0
		.amdhsa_workgroup_processor_mode 1
		.amdhsa_memory_ordered 1
		.amdhsa_forward_progress 0
		.amdhsa_shared_vgpr_count 0
		.amdhsa_exception_fp_ieee_invalid_op 0
		.amdhsa_exception_fp_denorm_src 0
		.amdhsa_exception_fp_ieee_div_zero 0
		.amdhsa_exception_fp_ieee_overflow 0
		.amdhsa_exception_fp_ieee_underflow 0
		.amdhsa_exception_fp_ieee_inexact 0
		.amdhsa_exception_int_div_zero 0
	.end_amdhsa_kernel
	.section	.text._ZN5aiter50hadamard_rotate_activation_fp4quant_inplace_kernelIDF16_Li1024ELb0ELi32EEEvPT_PKS1_iii,"axG",@progbits,_ZN5aiter50hadamard_rotate_activation_fp4quant_inplace_kernelIDF16_Li1024ELb0ELi32EEEvPT_PKS1_iii,comdat
.Lfunc_end15:
	.size	_ZN5aiter50hadamard_rotate_activation_fp4quant_inplace_kernelIDF16_Li1024ELb0ELi32EEEvPT_PKS1_iii, .Lfunc_end15-_ZN5aiter50hadamard_rotate_activation_fp4quant_inplace_kernelIDF16_Li1024ELb0ELi32EEEvPT_PKS1_iii
                                        ; -- End function
	.section	.AMDGPU.csdata,"",@progbits
; Kernel info:
; codeLenInByte = 5368
; NumSgprs: 18
; NumVgprs: 67
; ScratchSize: 0
; MemoryBound: 0
; FloatMode: 240
; IeeeMode: 1
; LDSByteSize: 0 bytes/workgroup (compile time only)
; SGPRBlocks: 2
; VGPRBlocks: 8
; NumSGPRsForWavesPerEU: 18
; NumVGPRsForWavesPerEU: 67
; Occupancy: 16
; WaveLimiterHint : 0
; COMPUTE_PGM_RSRC2:SCRATCH_EN: 0
; COMPUTE_PGM_RSRC2:USER_SGPR: 15
; COMPUTE_PGM_RSRC2:TRAP_HANDLER: 0
; COMPUTE_PGM_RSRC2:TGID_X_EN: 1
; COMPUTE_PGM_RSRC2:TGID_Y_EN: 0
; COMPUTE_PGM_RSRC2:TGID_Z_EN: 0
; COMPUTE_PGM_RSRC2:TIDIG_COMP_CNT: 0
	.section	.text._ZN5aiter50hadamard_rotate_activation_fp4quant_inplace_kernelItLi1024ELb0ELi32EEEvPT_PKS1_iii,"axG",@progbits,_ZN5aiter50hadamard_rotate_activation_fp4quant_inplace_kernelItLi1024ELb0ELi32EEEvPT_PKS1_iii,comdat
	.protected	_ZN5aiter50hadamard_rotate_activation_fp4quant_inplace_kernelItLi1024ELb0ELi32EEEvPT_PKS1_iii ; -- Begin function _ZN5aiter50hadamard_rotate_activation_fp4quant_inplace_kernelItLi1024ELb0ELi32EEEvPT_PKS1_iii
	.globl	_ZN5aiter50hadamard_rotate_activation_fp4quant_inplace_kernelItLi1024ELb0ELi32EEEvPT_PKS1_iii
	.p2align	8
	.type	_ZN5aiter50hadamard_rotate_activation_fp4quant_inplace_kernelItLi1024ELb0ELi32EEEvPT_PKS1_iii,@function
_ZN5aiter50hadamard_rotate_activation_fp4quant_inplace_kernelItLi1024ELb0ELi32EEEvPT_PKS1_iii: ; @_ZN5aiter50hadamard_rotate_activation_fp4quant_inplace_kernelItLi1024ELb0ELi32EEEvPT_PKS1_iii
; %bb.0:
	s_clause 0x1
	s_load_b64 s[10:11], s[0:1], 0x10
	s_load_b128 s[4:7], s[0:1], 0x0
	s_mov_b32 s1, 0
	v_lshlrev_b32_e32 v1, 6, v0
	s_mov_b32 s3, -1
	s_waitcnt lgkmcnt(0)
	s_sub_i32 s2, s10, s15
	s_cmp_lt_u32 s10, s15
	s_mul_i32 s0, s15, s11
	s_cselect_b32 s10, s2, 1
	s_lshl_b64 s[8:9], s[0:1], 1
	s_mul_i32 s1, s11, s10
	s_add_u32 s0, s6, s8
	s_addc_u32 s6, s7, s9
	s_lshl_b32 s2, s1, 1
	s_and_b32 s1, s6, 0xffff
	s_clause 0x3
	buffer_load_b128 v[2:5], v1, s[0:3], 32 offen
	buffer_load_b128 v[6:9], v1, s[0:3], 0 offen
	;; [unrolled: 1-line block ×4, first 2 shown]
	s_mov_b32 s1, 0x76543210
	s_waitcnt vmcnt(2)
	v_and_b32_e32 v27, 0xffff, v9
	v_lshrrev_b32_e32 v9, 16, v9
	s_waitcnt vmcnt(0)
	v_and_b32_e32 v33, 0xffff, v16
	v_lshrrev_b32_e32 v16, 16, v16
	v_cvt_f32_u32_e32 v27, v27
	v_cvt_f32_u32_e32 v9, v9
	v_and_b32_e32 v20, 0xffff, v2
	v_lshrrev_b32_e32 v2, 16, v2
	v_cvt_f32_u32_e32 v33, v33
	v_cvt_f32_u32_e32 v16, v16
	v_sub_f32_e32 v39, v27, v9
	v_cvt_f32_u32_e32 v20, v20
	v_cvt_f32_u32_e32 v2, v2
	v_and_b32_e32 v25, 0xffff, v8
	v_lshrrev_b32_e32 v8, 16, v8
	v_and_b32_e32 v31, 0xffff, v15
	v_lshrrev_b32_e32 v15, 16, v15
	v_add_f32_e32 v44, v20, v2
	v_sub_f32_e32 v2, v20, v2
	v_cvt_f32_u32_e32 v25, v25
	v_cvt_f32_u32_e32 v8, v8
	v_and_b32_e32 v35, 0xffff, v17
	v_lshrrev_b32_e32 v17, 16, v17
	v_and_b32_e32 v21, 0xffff, v6
	v_lshrrev_b32_e32 v6, 16, v6
	v_sub_f32_e32 v38, v25, v8
	v_add_f32_e32 v8, v25, v8
	v_cvt_f32_u32_e32 v35, v35
	v_cvt_f32_u32_e32 v17, v17
	v_and_b32_e32 v22, 0xffff, v3
	v_lshrrev_b32_e32 v3, 16, v3
	v_dual_sub_f32 v42, v33, v16 :: v_dual_and_b32 v23, 0xffff, v7
	v_lshrrev_b32_e32 v7, 16, v7
	v_cvt_f32_u32_e32 v31, v31
	s_delay_alu instid0(VALU_DEP_4)
	v_cvt_f32_u32_e32 v3, v3
	v_cvt_f32_u32_e32 v15, v15
	v_and_b32_e32 v24, 0xffff, v4
	v_lshrrev_b32_e32 v4, 16, v4
	v_sub_f32_e32 v43, v35, v17
	v_cvt_f32_u32_e32 v22, v22
	v_dual_sub_f32 v41, v31, v15 :: v_dual_and_b32 v28, 0xffff, v10
	v_lshrrev_b32_e32 v10, 16, v10
	s_delay_alu instid0(VALU_DEP_3)
	v_dual_add_f32 v20, v22, v3 :: v_dual_and_b32 v29, 0xffff, v14
	v_lshrrev_b32_e32 v14, 16, v14
	v_dual_add_f32 v9, v27, v9 :: v_dual_and_b32 v32, 0xffff, v12
	v_lshrrev_b32_e32 v12, 16, v12
	v_cvt_f32_u32_e32 v21, v21
	v_cvt_f32_u32_e32 v6, v6
	;; [unrolled: 1-line block ×4, first 2 shown]
	v_and_b32_e32 v26, 0xffff, v5
	v_lshrrev_b32_e32 v5, 16, v5
	v_cvt_f32_u32_e32 v24, v24
	v_cvt_f32_u32_e32 v4, v4
	v_and_b32_e32 v30, 0xffff, v11
	v_lshrrev_b32_e32 v11, 16, v11
	v_cvt_f32_u32_e32 v10, v10
	v_sub_f32_e32 v3, v22, v3
	v_cvt_f32_u32_e32 v28, v28
	v_and_b32_e32 v34, 0xffff, v13
	v_lshrrev_b32_e32 v13, 16, v13
	v_dual_sub_f32 v37, v23, v7 :: v_dual_and_b32 v18, 1, v0
	v_cvt_f32_u32_e32 v5, v5
	v_cvt_f32_u32_e32 v29, v29
	;; [unrolled: 1-line block ×7, first 2 shown]
	v_sub_f32_e32 v36, v21, v6
	v_dual_add_f32 v6, v21, v6 :: v_dual_add_f32 v7, v23, v7
	v_cvt_f32_u32_e32 v26, v26
	v_add_f32_e32 v21, v24, v4
	v_cvt_f32_u32_e32 v30, v30
	v_add_f32_e32 v23, v28, v10
	v_cvt_f32_u32_e32 v34, v34
	v_dual_sub_f32 v40, v29, v14 :: v_dual_and_b32 v19, 2, v0
	v_sub_f32_e32 v4, v24, v4
	v_add_f32_e32 v22, v26, v5
	v_dual_sub_f32 v5, v26, v5 :: v_dual_add_f32 v14, v29, v14
	v_dual_add_f32 v15, v31, v15 :: v_dual_sub_f32 v10, v28, v10
	v_dual_add_f32 v24, v30, v11 :: v_dual_add_f32 v25, v32, v12
	v_dual_sub_f32 v11, v30, v11 :: v_dual_add_f32 v16, v33, v16
	v_dual_add_f32 v17, v35, v17 :: v_dual_sub_f32 v12, v32, v12
	v_add_f32_e32 v26, v34, v13
	v_sub_f32_e32 v13, v34, v13
	v_dual_sub_f32 v27, v6, v7 :: v_dual_add_f32 v28, v36, v37
	v_dual_sub_f32 v29, v36, v37 :: v_dual_sub_f32 v32, v38, v39
	v_dual_sub_f32 v30, v8, v9 :: v_dual_add_f32 v31, v38, v39
	v_dual_sub_f32 v33, v14, v15 :: v_dual_add_f32 v34, v40, v41
	v_dual_sub_f32 v35, v40, v41 :: v_dual_sub_f32 v38, v42, v43
	v_dual_sub_f32 v36, v16, v17 :: v_dual_add_f32 v37, v42, v43
	v_dual_add_f32 v39, v44, v20 :: v_dual_add_f32 v6, v6, v7
	v_dual_sub_f32 v7, v44, v20 :: v_dual_add_f32 v20, v2, v3
	v_dual_sub_f32 v2, v2, v3 :: v_dual_add_f32 v3, v21, v22
	v_dual_add_f32 v8, v8, v9 :: v_dual_sub_f32 v9, v21, v22
	v_dual_add_f32 v21, v4, v5 :: v_dual_add_f32 v14, v14, v15
	v_dual_sub_f32 v4, v4, v5 :: v_dual_sub_f32 v15, v23, v24
	v_dual_add_f32 v5, v23, v24 :: v_dual_add_f32 v22, v10, v11
	v_dual_sub_f32 v10, v10, v11 :: v_dual_add_f32 v11, v25, v26
	v_dual_add_f32 v16, v16, v17 :: v_dual_sub_f32 v17, v25, v26
	v_dual_add_f32 v23, v12, v13 :: v_dual_add_f32 v26, v27, v30
	v_dual_sub_f32 v12, v12, v13 :: v_dual_sub_f32 v27, v27, v30
	v_dual_sub_f32 v13, v6, v8 :: v_dual_add_f32 v24, v28, v31
	v_dual_sub_f32 v25, v28, v31 :: v_dual_add_f32 v28, v29, v32
	v_sub_f32_e32 v29, v29, v32
	v_sub_f32_e32 v30, v14, v16
	v_add_f32_e32 v31, v34, v37
	v_sub_f32_e32 v32, v34, v37
	v_add_f32_e32 v34, v33, v36
	v_dual_sub_f32 v33, v33, v36 :: v_dual_add_f32 v36, v35, v38
	v_sub_f32_e32 v35, v35, v38
	v_dual_add_f32 v37, v39, v3 :: v_dual_add_f32 v6, v6, v8
	v_dual_sub_f32 v3, v39, v3 :: v_dual_add_f32 v8, v20, v21
	v_sub_f32_e32 v20, v20, v21
	v_add_f32_e32 v21, v7, v9
	v_sub_f32_e32 v7, v7, v9
	v_add_f32_e32 v9, v2, v4
	;; [unrolled: 2-line block ×3, first 2 shown]
	v_dual_add_f32 v14, v14, v16 :: v_dual_sub_f32 v5, v5, v11
	v_add_f32_e32 v11, v22, v23
	v_sub_f32_e32 v16, v22, v23
	v_add_f32_e32 v22, v15, v17
	v_sub_f32_e32 v15, v15, v17
	v_add_f32_e32 v17, v10, v12
	v_dual_sub_f32 v10, v10, v12 :: v_dual_add_f32 v23, v24, v31
	v_sub_f32_e32 v12, v6, v14
	v_dual_sub_f32 v24, v24, v31 :: v_dual_add_f32 v31, v26, v34
	v_sub_f32_e32 v26, v26, v34
	v_add_f32_e32 v34, v28, v36
	v_sub_f32_e32 v28, v28, v36
	v_add_f32_e32 v36, v13, v30
	;; [unrolled: 2-line block ×3, first 2 shown]
	v_dual_sub_f32 v25, v25, v32 :: v_dual_add_f32 v32, v27, v33
	v_sub_f32_e32 v27, v27, v33
	v_add_f32_e32 v33, v29, v35
	v_sub_f32_e32 v29, v29, v35
	v_dual_add_f32 v35, v37, v4 :: v_dual_add_f32 v6, v6, v14
	v_add_f32_e32 v14, v8, v11
	v_dual_sub_f32 v8, v8, v11 :: v_dual_add_f32 v11, v21, v22
	v_sub_f32_e32 v21, v21, v22
	v_add_f32_e32 v22, v9, v17
	v_sub_f32_e32 v4, v37, v4
	v_sub_f32_e32 v9, v9, v17
	v_add_f32_e32 v17, v3, v5
	v_sub_f32_e32 v3, v3, v5
	v_add_f32_e32 v5, v20, v16
	;; [unrolled: 2-line block ×5, first 2 shown]
	v_dual_sub_f32 v6, v6, v35 :: v_dual_add_f32 v35, v23, v14
	v_sub_f32_e32 v14, v23, v14
	v_add_f32_e32 v23, v31, v11
	v_sub_f32_e32 v11, v31, v11
	v_add_f32_e32 v31, v34, v22
	;; [unrolled: 2-line block ×4, first 2 shown]
	v_dual_sub_f32 v5, v30, v5 :: v_dual_add_f32 v30, v32, v20
	v_sub_f32_e32 v20, v32, v20
	v_add_f32_e32 v32, v33, v15
	v_sub_f32_e32 v15, v33, v15
	v_add_f32_e32 v33, v12, v4
	v_sub_f32_e32 v4, v12, v4
	v_add_f32_e32 v12, v24, v8
	v_sub_f32_e32 v8, v24, v8
	v_add_f32_e32 v24, v26, v21
	v_sub_f32_e32 v21, v26, v21
	v_sub_f32_dpp v37, v35, v35 quad_perm:[1,0,3,2] row_mask:0xf bank_mask:0xf bound_ctrl:1
	v_add_f32_dpp v35, v35, v35 quad_perm:[1,0,3,2] row_mask:0xf bank_mask:0xf bound_ctrl:1
	v_sub_f32_dpp v38, v23, v23 quad_perm:[1,0,3,2] row_mask:0xf bank_mask:0xf bound_ctrl:1
	v_add_f32_dpp v23, v23, v23 quad_perm:[1,0,3,2] row_mask:0xf bank_mask:0xf bound_ctrl:1
	;; [unrolled: 2-line block ×3, first 2 shown]
	v_cmp_eq_u32_e32 vcc_lo, 0, v18
	v_add_f32_e32 v26, v28, v9
	v_dual_sub_f32 v9, v28, v9 :: v_dual_add_f32 v28, v13, v3
	v_sub_f32_e32 v3, v13, v3
	v_add_f32_e32 v13, v25, v16
	v_dual_sub_f32 v16, v25, v16 :: v_dual_cndmask_b32 v23, v38, v23
	v_add_f32_e32 v25, v27, v7
	v_sub_f32_e32 v7, v27, v7
	v_add_f32_e32 v27, v29, v2
	v_dual_sub_f32 v2, v29, v2 :: v_dual_cndmask_b32 v31, v39, v31
	v_sub_f32_dpp v29, v10, v10 quad_perm:[1,0,3,2] row_mask:0xf bank_mask:0xf bound_ctrl:1
	v_add_f32_dpp v10, v10, v10 quad_perm:[1,0,3,2] row_mask:0xf bank_mask:0xf bound_ctrl:1
	v_sub_f32_dpp v44, v33, v33 quad_perm:[1,0,3,2] row_mask:0xf bank_mask:0xf bound_ctrl:1
	v_add_f32_dpp v33, v33, v33 quad_perm:[1,0,3,2] row_mask:0xf bank_mask:0xf bound_ctrl:1
	;; [unrolled: 2-line block ×5, first 2 shown]
	v_dual_cndmask_b32 v10, v29, v10 :: v_dual_cndmask_b32 v33, v44, v33
	v_cndmask_b32_e32 v29, v37, v35, vcc_lo
	v_sub_f32_dpp v47, v26, v26 quad_perm:[1,0,3,2] row_mask:0xf bank_mask:0xf bound_ctrl:1
	v_add_f32_dpp v26, v26, v26 quad_perm:[1,0,3,2] row_mask:0xf bank_mask:0xf bound_ctrl:1
	v_sub_f32_dpp v52, v6, v6 quad_perm:[1,0,3,2] row_mask:0xf bank_mask:0xf bound_ctrl:1
	v_add_f32_dpp v6, v6, v6 quad_perm:[1,0,3,2] row_mask:0xf bank_mask:0xf bound_ctrl:1
	;; [unrolled: 2-line block ×8, first 2 shown]
	v_dual_cndmask_b32 v26, v47, v26 :: v_dual_cndmask_b32 v11, v54, v11
	s_delay_alu instid0(VALU_DEP_4)
	v_dual_cndmask_b32 v22, v55, v22 :: v_dual_cndmask_b32 v3, v64, v3
	v_dual_cndmask_b32 v20, v58, v20 :: v_dual_cndmask_b32 v9, v63, v9
	v_sub_f32_dpp v37, v23, v23 quad_perm:[2,3,0,1] row_mask:0xf bank_mask:0xf bound_ctrl:1
	v_add_f32_dpp v23, v23, v23 quad_perm:[2,3,0,1] row_mask:0xf bank_mask:0xf bound_ctrl:1
	v_cmp_eq_u32_e64 s0, 0, v19
	v_sub_f32_dpp v40, v34, v34 quad_perm:[1,0,3,2] row_mask:0xf bank_mask:0xf bound_ctrl:1
	v_add_f32_dpp v34, v34, v34 quad_perm:[1,0,3,2] row_mask:0xf bank_mask:0xf bound_ctrl:1
	v_sub_f32_dpp v41, v36, v36 quad_perm:[1,0,3,2] row_mask:0xf bank_mask:0xf bound_ctrl:1
	v_add_f32_dpp v36, v36, v36 quad_perm:[1,0,3,2] row_mask:0xf bank_mask:0xf bound_ctrl:1
	v_dual_cndmask_b32 v6, v52, v6 :: v_dual_cndmask_b32 v15, v59, v15
	v_dual_cndmask_b32 v14, v53, v14 :: v_dual_cndmask_b32 v21, v62, v21
	v_sub_f32_dpp v19, v11, v11 quad_perm:[2,3,0,1] row_mask:0xf bank_mask:0xf bound_ctrl:1
	v_add_f32_dpp v11, v11, v11 quad_perm:[2,3,0,1] row_mask:0xf bank_mask:0xf bound_ctrl:1
	v_sub_f32_dpp v53, v22, v22 quad_perm:[2,3,0,1] row_mask:0xf bank_mask:0xf bound_ctrl:1
	v_cndmask_b32_e64 v23, v37, v23, s0
	v_cndmask_b32_e32 v2, v18, v2, vcc_lo
	v_sub_f32_dpp v18, v10, v10 quad_perm:[2,3,0,1] row_mask:0xf bank_mask:0xf bound_ctrl:1
	v_add_f32_dpp v10, v10, v10 quad_perm:[2,3,0,1] row_mask:0xf bank_mask:0xf bound_ctrl:1
	v_add_f32_dpp v22, v22, v22 quad_perm:[2,3,0,1] row_mask:0xf bank_mask:0xf bound_ctrl:1
	v_sub_f32_dpp v37, v20, v20 quad_perm:[2,3,0,1] row_mask:0xf bank_mask:0xf bound_ctrl:1
	v_add_f32_dpp v20, v20, v20 quad_perm:[2,3,0,1] row_mask:0xf bank_mask:0xf bound_ctrl:1
	v_dual_cndmask_b32 v34, v40, v34 :: v_dual_cndmask_b32 v35, v41, v36
	v_sub_f32_dpp v36, v29, v29 quad_perm:[2,3,0,1] row_mask:0xf bank_mask:0xf bound_ctrl:1
	v_add_f32_dpp v29, v29, v29 quad_perm:[2,3,0,1] row_mask:0xf bank_mask:0xf bound_ctrl:1
	v_cndmask_b32_e64 v10, v18, v10, s0
	v_cndmask_b32_e64 v11, v19, v11, s0
	v_cndmask_b32_e64 v19, v53, v22, s0
	v_cndmask_b32_e64 v20, v37, v20, s0
	v_sub_f32_dpp v22, v15, v15 quad_perm:[2,3,0,1] row_mask:0xf bank_mask:0xf bound_ctrl:1
	v_add_f32_dpp v15, v15, v15 quad_perm:[2,3,0,1] row_mask:0xf bank_mask:0xf bound_ctrl:1
	v_sub_f32_dpp v37, v21, v21 quad_perm:[2,3,0,1] row_mask:0xf bank_mask:0xf bound_ctrl:1
	v_add_f32_dpp v21, v21, v21 quad_perm:[2,3,0,1] row_mask:0xf bank_mask:0xf bound_ctrl:1
	;; [unrolled: 2-line block ×7, first 2 shown]
	v_cndmask_b32_e64 v18, v36, v29, s0
	v_cndmask_b32_e64 v15, v22, v15, s0
	;; [unrolled: 1-line block ×3, first 2 shown]
	v_sub_f32_dpp v22, v3, v3 quad_perm:[2,3,0,1] row_mask:0xf bank_mask:0xf bound_ctrl:1
	v_add_f32_dpp v3, v3, v3 quad_perm:[2,3,0,1] row_mask:0xf bank_mask:0xf bound_ctrl:1
	v_mov_b32_dpp v37, v10 row_shl:4 row_mask:0xf bank_mask:0x5 bound_ctrl:1
	v_sub_f32_dpp v60, v4, v4 quad_perm:[1,0,3,2] row_mask:0xf bank_mask:0xf bound_ctrl:1
	v_add_f32_dpp v4, v4, v4 quad_perm:[1,0,3,2] row_mask:0xf bank_mask:0xf bound_ctrl:1
	v_sub_f32_dpp v61, v8, v8 quad_perm:[1,0,3,2] row_mask:0xf bank_mask:0xf bound_ctrl:1
	v_add_f32_dpp v8, v8, v8 quad_perm:[1,0,3,2] row_mask:0xf bank_mask:0xf bound_ctrl:1
	v_dual_cndmask_b32 v24, v46, v24 :: v_dual_cndmask_b32 v17, v56, v17
	v_dual_cndmask_b32 v28, v48, v28 :: v_dual_cndmask_b32 v5, v57, v5
	v_sub_f32_dpp v39, v34, v34 quad_perm:[2,3,0,1] row_mask:0xf bank_mask:0xf bound_ctrl:1
	v_add_f32_dpp v34, v34, v34 quad_perm:[2,3,0,1] row_mask:0xf bank_mask:0xf bound_ctrl:1
	v_sub_f32_dpp v40, v35, v35 quad_perm:[2,3,0,1] row_mask:0xf bank_mask:0xf bound_ctrl:1
	v_add_f32_dpp v35, v35, v35 quad_perm:[2,3,0,1] row_mask:0xf bank_mask:0xf bound_ctrl:1
	v_cndmask_b32_e64 v29, v38, v31, s0
	v_sub_f32_dpp v38, v9, v9 quad_perm:[2,3,0,1] row_mask:0xf bank_mask:0xf bound_ctrl:1
	v_add_f32_dpp v9, v9, v9 quad_perm:[2,3,0,1] row_mask:0xf bank_mask:0xf bound_ctrl:1
	v_cndmask_b32_e64 v3, v22, v3, s0
	v_mov_b32_dpp v22, v18 row_shl:4 row_mask:0xf bank_mask:0x5 bound_ctrl:1
	v_mov_b32_dpp v37, v10 row_shr:4 row_mask:0xf bank_mask:0xa bound_ctrl:1
	v_sub_f32_dpp v65, v16, v16 quad_perm:[1,0,3,2] row_mask:0xf bank_mask:0xf bound_ctrl:1
	v_add_f32_dpp v16, v16, v16 quad_perm:[1,0,3,2] row_mask:0xf bank_mask:0xf bound_ctrl:1
	v_sub_f32_dpp v66, v7, v7 quad_perm:[1,0,3,2] row_mask:0xf bank_mask:0xf bound_ctrl:1
	v_add_f32_dpp v7, v7, v7 quad_perm:[1,0,3,2] row_mask:0xf bank_mask:0xf bound_ctrl:1
	v_cndmask_b32_e32 v4, v60, v4, vcc_lo
	v_cndmask_b32_e64 v31, v39, v34, s0
	v_cndmask_b32_e64 v34, v40, v35, s0
	v_sub_f32_dpp v35, v17, v17 quad_perm:[2,3,0,1] row_mask:0xf bank_mask:0xf bound_ctrl:1
	v_cndmask_b32_e32 v7, v66, v7, vcc_lo
	v_add_f32_dpp v17, v17, v17 quad_perm:[2,3,0,1] row_mask:0xf bank_mask:0xf bound_ctrl:1
	v_sub_f32_dpp v36, v5, v5 quad_perm:[2,3,0,1] row_mask:0xf bank_mask:0xf bound_ctrl:1
	v_add_f32_dpp v5, v5, v5 quad_perm:[2,3,0,1] row_mask:0xf bank_mask:0xf bound_ctrl:1
	v_cndmask_b32_e64 v9, v38, v9, s0
	v_mov_b32_dpp v22, v18 row_shr:4 row_mask:0xf bank_mask:0xa bound_ctrl:1
	v_cndmask_b32_e32 v8, v61, v8, vcc_lo
	v_sub_f32_e32 v38, v37, v10
	v_add_f32_e32 v10, v10, v37
	v_mov_b32_dpp v37, v23 row_shl:4 row_mask:0xf bank_mask:0x5 bound_ctrl:1
	v_sub_f32_dpp v42, v30, v30 quad_perm:[1,0,3,2] row_mask:0xf bank_mask:0xf bound_ctrl:1
	v_add_f32_dpp v30, v30, v30 quad_perm:[1,0,3,2] row_mask:0xf bank_mask:0xf bound_ctrl:1
	v_cndmask_b32_e64 v17, v35, v17, s0
	v_cndmask_b32_e64 v5, v36, v5, s0
	v_sub_f32_dpp v35, v4, v4 quad_perm:[2,3,0,1] row_mask:0xf bank_mask:0xf bound_ctrl:1
	v_add_f32_dpp v4, v4, v4 quad_perm:[2,3,0,1] row_mask:0xf bank_mask:0xf bound_ctrl:1
	v_sub_f32_e32 v39, v22, v18
	v_sub_f32_dpp v36, v8, v8 quad_perm:[2,3,0,1] row_mask:0xf bank_mask:0xf bound_ctrl:1
	v_add_f32_dpp v8, v8, v8 quad_perm:[2,3,0,1] row_mask:0xf bank_mask:0xf bound_ctrl:1
	v_mov_b32_dpp v37, v23 row_shr:4 row_mask:0xf bank_mask:0xa bound_ctrl:1
	v_cndmask_b32_e32 v16, v65, v16, vcc_lo
	v_sub_f32_dpp v49, v13, v13 quad_perm:[1,0,3,2] row_mask:0xf bank_mask:0xf bound_ctrl:1
	v_add_f32_dpp v13, v13, v13 quad_perm:[1,0,3,2] row_mask:0xf bank_mask:0xf bound_ctrl:1
	v_cndmask_b32_e32 v30, v42, v30, vcc_lo
	v_cndmask_b32_e64 v4, v35, v4, s0
	v_cndmask_b32_e64 v8, v36, v8, s0
	v_sub_f32_dpp v35, v16, v16 quad_perm:[2,3,0,1] row_mask:0xf bank_mask:0xf bound_ctrl:1
	v_cndmask_b32_e32 v13, v49, v13, vcc_lo
	v_add_f32_dpp v16, v16, v16 quad_perm:[2,3,0,1] row_mask:0xf bank_mask:0xf bound_ctrl:1
	v_sub_f32_dpp v36, v7, v7 quad_perm:[2,3,0,1] row_mask:0xf bank_mask:0xf bound_ctrl:1
	v_add_f32_dpp v7, v7, v7 quad_perm:[2,3,0,1] row_mask:0xf bank_mask:0xf bound_ctrl:1
	v_add_f32_e32 v18, v18, v22
	v_mov_b32_dpp v22, v29 row_shl:4 row_mask:0xf bank_mask:0x5 bound_ctrl:1
	v_sub_f32_dpp v43, v32, v32 quad_perm:[1,0,3,2] row_mask:0xf bank_mask:0xf bound_ctrl:1
	v_add_f32_dpp v32, v32, v32 quad_perm:[1,0,3,2] row_mask:0xf bank_mask:0xf bound_ctrl:1
	v_sub_f32_dpp v45, v12, v12 quad_perm:[1,0,3,2] row_mask:0xf bank_mask:0xf bound_ctrl:1
	v_add_f32_dpp v12, v12, v12 quad_perm:[1,0,3,2] row_mask:0xf bank_mask:0xf bound_ctrl:1
	;; [unrolled: 2-line block ×5, first 2 shown]
	v_cndmask_b32_e64 v16, v35, v16, s0
	v_cndmask_b32_e64 v7, v36, v7, s0
	v_sub_f32_dpp v35, v2, v2 quad_perm:[2,3,0,1] row_mask:0xf bank_mask:0xf bound_ctrl:1
	v_add_f32_dpp v2, v2, v2 quad_perm:[2,3,0,1] row_mask:0xf bank_mask:0xf bound_ctrl:1
	v_mov_b32_dpp v22, v29 row_shr:4 row_mask:0xf bank_mask:0xa bound_ctrl:1
	v_and_b32_e32 v36, 4, v0
	v_dual_cndmask_b32 v32, v43, v32 :: v_dual_cndmask_b32 v25, v50, v25
	v_dual_cndmask_b32 v12, v45, v12 :: v_dual_cndmask_b32 v27, v51, v27
	v_sub_f32_dpp v43, v33, v33 quad_perm:[2,3,0,1] row_mask:0xf bank_mask:0xf bound_ctrl:1
	v_add_f32_dpp v33, v33, v33 quad_perm:[2,3,0,1] row_mask:0xf bank_mask:0xf bound_ctrl:1
	v_cndmask_b32_e64 v30, v41, v30, s0
	v_cndmask_b32_e64 v2, v35, v2, s0
	v_sub_f32_e32 v35, v37, v23
	v_add_f32_e32 v23, v23, v37
	v_sub_f32_e32 v37, v22, v29
	v_cmp_eq_u32_e32 vcc_lo, 0, v36
	v_mov_b32_dpp v36, v31 row_shl:4 row_mask:0xf bank_mask:0x5 bound_ctrl:1
	v_cndmask_b32_e64 v33, v43, v33, s0
	v_add_f32_e32 v22, v29, v22
	v_mov_b32_dpp v29, v30 row_shl:4 row_mask:0xf bank_mask:0x5 bound_ctrl:1
	v_cndmask_b32_e32 v23, v35, v23, vcc_lo
	v_mov_b32_dpp v36, v31 row_shr:4 row_mask:0xf bank_mask:0xa bound_ctrl:1
	v_sub_f32_dpp v42, v32, v32 quad_perm:[2,3,0,1] row_mask:0xf bank_mask:0xf bound_ctrl:1
	v_add_f32_dpp v32, v32, v32 quad_perm:[2,3,0,1] row_mask:0xf bank_mask:0xf bound_ctrl:1
	v_mov_b32_dpp v29, v30 row_shr:4 row_mask:0xf bank_mask:0xa bound_ctrl:1
	v_sub_f32_dpp v45, v24, v24 quad_perm:[2,3,0,1] row_mask:0xf bank_mask:0xf bound_ctrl:1
	v_sub_f32_e32 v35, v36, v31
	v_add_f32_e32 v31, v31, v36
	v_cndmask_b32_e32 v18, v39, v18, vcc_lo
	v_mov_b32_dpp v39, v33 row_shl:4 row_mask:0xf bank_mask:0x5 bound_ctrl:1
	v_add_f32_dpp v24, v24, v24 quad_perm:[2,3,0,1] row_mask:0xf bank_mask:0xf bound_ctrl:1
	v_sub_f32_dpp v48, v13, v13 quad_perm:[2,3,0,1] row_mask:0xf bank_mask:0xf bound_ctrl:1
	v_add_f32_dpp v13, v13, v13 quad_perm:[2,3,0,1] row_mask:0xf bank_mask:0xf bound_ctrl:1
	v_sub_f32_dpp v44, v12, v12 quad_perm:[2,3,0,1] row_mask:0xf bank_mask:0xf bound_ctrl:1
	v_mov_b32_dpp v39, v33 row_shr:4 row_mask:0xf bank_mask:0xa bound_ctrl:1
	v_cndmask_b32_e32 v10, v38, v10, vcc_lo
	v_mov_b32_dpp v38, v34 row_shl:4 row_mask:0xf bank_mask:0x5 bound_ctrl:1
	v_add_f32_dpp v12, v12, v12 quad_perm:[2,3,0,1] row_mask:0xf bank_mask:0xf bound_ctrl:1
	v_sub_f32_dpp v50, v27, v27 quad_perm:[2,3,0,1] row_mask:0xf bank_mask:0xf bound_ctrl:1
	v_add_f32_dpp v27, v27, v27 quad_perm:[2,3,0,1] row_mask:0xf bank_mask:0xf bound_ctrl:1
	v_cndmask_b32_e64 v32, v42, v32, s0
	v_mov_b32_dpp v38, v34 row_shr:4 row_mask:0xf bank_mask:0xa bound_ctrl:1
	v_cndmask_b32_e64 v24, v45, v24, s0
	v_cndmask_b32_e64 v13, v48, v13, s0
	v_sub_f32_dpp v47, v28, v28 quad_perm:[2,3,0,1] row_mask:0xf bank_mask:0xf bound_ctrl:1
	v_add_f32_dpp v28, v28, v28 quad_perm:[2,3,0,1] row_mask:0xf bank_mask:0xf bound_ctrl:1
	v_sub_f32_e32 v36, v38, v34
	v_add_f32_e32 v34, v34, v38
	v_dual_sub_f32 v38, v29, v30 :: v_dual_add_f32 v29, v30, v29
	v_cndmask_b32_e64 v12, v44, v12, s0
	v_cndmask_b32_e64 v27, v50, v27, s0
	s_delay_alu instid0(VALU_DEP_4) | instskip(NEXT) | instid1(VALU_DEP_4)
	v_dual_cndmask_b32 v30, v35, v31 :: v_dual_cndmask_b32 v31, v36, v34
	v_cndmask_b32_e32 v29, v38, v29, vcc_lo
	v_dual_sub_f32 v36, v39, v33 :: v_dual_add_f32 v33, v33, v39
	v_cndmask_b32_e32 v22, v37, v22, vcc_lo
	v_mov_b32_dpp v37, v32 row_shl:4 row_mask:0xf bank_mask:0x5 bound_ctrl:1
	v_sub_f32_dpp v46, v26, v26 quad_perm:[2,3,0,1] row_mask:0xf bank_mask:0xf bound_ctrl:1
	v_add_f32_dpp v26, v26, v26 quad_perm:[2,3,0,1] row_mask:0xf bank_mask:0xf bound_ctrl:1
	v_cndmask_b32_e32 v33, v36, v33, vcc_lo
	v_sub_f32_dpp v49, v25, v25 quad_perm:[2,3,0,1] row_mask:0xf bank_mask:0xf bound_ctrl:1
	v_add_f32_dpp v25, v25, v25 quad_perm:[2,3,0,1] row_mask:0xf bank_mask:0xf bound_ctrl:1
	v_cndmask_b32_e64 v28, v47, v28, s0
	v_mov_b32_dpp v37, v32 row_shr:4 row_mask:0xf bank_mask:0xa bound_ctrl:1
	v_mov_b32_dpp v35, v12 row_shl:4 row_mask:0xf bank_mask:0x5 bound_ctrl:1
	v_sub_f32_dpp v51, v6, v6 quad_perm:[2,3,0,1] row_mask:0xf bank_mask:0xf bound_ctrl:1
	v_add_f32_dpp v6, v6, v6 quad_perm:[2,3,0,1] row_mask:0xf bank_mask:0xf bound_ctrl:1
	v_cndmask_b32_e64 v26, v46, v26, s0
	v_cndmask_b32_e64 v25, v49, v25, s0
	v_sub_f32_e32 v34, v37, v32
	v_add_f32_e32 v32, v32, v37
	v_mov_b32_dpp v37, v24 row_shl:4 row_mask:0xf bank_mask:0x5 bound_ctrl:1
	v_mov_b32_dpp v35, v12 row_shr:4 row_mask:0xf bank_mask:0xa bound_ctrl:1
	v_mov_b32_dpp v36, v28 row_shl:4 row_mask:0xf bank_mask:0x5 bound_ctrl:1
	v_mov_b32_dpp v39, v13 row_shl:4 row_mask:0xf bank_mask:0x5 bound_ctrl:1
	v_cndmask_b32_e64 v6, v51, v6, s0
	v_cndmask_b32_e32 v32, v34, v32, vcc_lo
	v_mov_b32_dpp v37, v24 row_shr:4 row_mask:0xf bank_mask:0xa bound_ctrl:1
	v_sub_f32_e32 v34, v35, v12
	v_add_f32_e32 v12, v12, v35
	v_mov_b32_dpp v36, v28 row_shr:4 row_mask:0xf bank_mask:0xa bound_ctrl:1
	v_mov_b32_dpp v39, v13 row_shr:4 row_mask:0xf bank_mask:0xa bound_ctrl:1
	v_sub_f32_dpp v52, v14, v14 quad_perm:[2,3,0,1] row_mask:0xf bank_mask:0xf bound_ctrl:1
	v_add_f32_dpp v14, v14, v14 quad_perm:[2,3,0,1] row_mask:0xf bank_mask:0xf bound_ctrl:1
	v_dual_sub_f32 v35, v37, v24 :: v_dual_add_f32 v24, v24, v37
	v_cndmask_b32_e32 v12, v34, v12, vcc_lo
	v_sub_f32_e32 v34, v36, v28
	v_add_f32_e32 v28, v28, v36
	v_dual_sub_f32 v36, v39, v13 :: v_dual_add_f32 v13, v13, v39
	v_cndmask_b32_e64 v14, v52, v14, s0
	v_cndmask_b32_e32 v24, v35, v24, vcc_lo
	v_mov_b32_dpp v35, v25 row_shl:4 row_mask:0xf bank_mask:0x5 bound_ctrl:1
	v_mov_b32_dpp v39, v11 row_shl:4 row_mask:0xf bank_mask:0x5 bound_ctrl:1
	v_cndmask_b32_e32 v13, v36, v13, vcc_lo
	v_mov_b32_dpp v38, v26 row_shl:4 row_mask:0xf bank_mask:0x5 bound_ctrl:1
	v_mov_b32_dpp v36, v14 row_shl:4 row_mask:0xf bank_mask:0x5 bound_ctrl:1
	v_mov_b32_dpp v35, v25 row_shr:4 row_mask:0xf bank_mask:0xa bound_ctrl:1
	v_cndmask_b32_e32 v28, v34, v28, vcc_lo
	v_mov_b32_dpp v39, v11 row_shr:4 row_mask:0xf bank_mask:0xa bound_ctrl:1
	v_mov_b32_dpp v38, v26 row_shr:4 row_mask:0xf bank_mask:0xa bound_ctrl:1
	;; [unrolled: 1-line block ×3, first 2 shown]
	v_dual_sub_f32 v34, v35, v25 :: v_dual_add_f32 v25, v25, v35
	s_delay_alu instid0(VALU_DEP_3) | instskip(SKIP_2) | instid1(VALU_DEP_4)
	v_sub_f32_e32 v37, v38, v26
	v_add_f32_e32 v26, v26, v38
	v_mov_b32_dpp v38, v6 row_shl:4 row_mask:0xf bank_mask:0x5 bound_ctrl:1
	v_dual_cndmask_b32 v25, v34, v25 :: v_dual_sub_f32 v34, v36, v14
	v_add_f32_e32 v14, v14, v36
	v_sub_f32_e32 v36, v39, v11
	v_dual_add_f32 v11, v11, v39 :: v_dual_cndmask_b32 v26, v37, v26
	v_mov_b32_dpp v37, v27 row_shl:4 row_mask:0xf bank_mask:0x5 bound_ctrl:1
	v_mov_b32_dpp v38, v6 row_shr:4 row_mask:0xf bank_mask:0xa bound_ctrl:1
	s_delay_alu instid0(VALU_DEP_3) | instskip(SKIP_1) | instid1(VALU_DEP_4)
	v_dual_cndmask_b32 v14, v34, v14 :: v_dual_cndmask_b32 v11, v36, v11
	v_mov_b32_dpp v36, v20 row_shl:4 row_mask:0xf bank_mask:0x5 bound_ctrl:1
	v_mov_b32_dpp v37, v27 row_shr:4 row_mask:0xf bank_mask:0xa bound_ctrl:1
	v_mov_b32_dpp v39, v15 row_shl:4 row_mask:0xf bank_mask:0x5 bound_ctrl:1
	s_delay_alu instid0(VALU_DEP_3) | instskip(NEXT) | instid1(VALU_DEP_3)
	v_mov_b32_dpp v36, v20 row_shr:4 row_mask:0xf bank_mask:0xa bound_ctrl:1
	v_sub_f32_e32 v35, v37, v27
	v_add_f32_e32 v27, v27, v37
	v_sub_f32_e32 v37, v38, v6
	v_add_f32_e32 v6, v6, v38
	v_mov_b32_dpp v38, v5 row_shl:4 row_mask:0xf bank_mask:0x5 bound_ctrl:1
	v_mov_b32_dpp v39, v15 row_shr:4 row_mask:0xf bank_mask:0xa bound_ctrl:1
	v_cndmask_b32_e32 v27, v35, v27, vcc_lo
	v_mov_b32_dpp v35, v19 row_shl:4 row_mask:0xf bank_mask:0x5 bound_ctrl:1
	s_delay_alu instid0(VALU_DEP_4) | instskip(NEXT) | instid1(VALU_DEP_2)
	v_mov_b32_dpp v38, v5 row_shr:4 row_mask:0xf bank_mask:0xa bound_ctrl:1
	v_mov_b32_dpp v35, v19 row_shr:4 row_mask:0xf bank_mask:0xa bound_ctrl:1
	s_delay_alu instid0(VALU_DEP_1) | instskip(SKIP_2) | instid1(VALU_DEP_2)
	v_sub_f32_e32 v34, v35, v19
	v_dual_add_f32 v19, v19, v35 :: v_dual_cndmask_b32 v6, v37, v6
	v_mov_b32_dpp v37, v17 row_shl:4 row_mask:0xf bank_mask:0x5 bound_ctrl:1
	v_dual_cndmask_b32 v19, v34, v19 :: v_dual_sub_f32 v34, v36, v20
	s_delay_alu instid0(VALU_DEP_2) | instskip(SKIP_3) | instid1(VALU_DEP_4)
	v_mov_b32_dpp v37, v17 row_shr:4 row_mask:0xf bank_mask:0xa bound_ctrl:1
	v_add_f32_e32 v20, v20, v36
	v_sub_f32_e32 v36, v39, v15
	v_add_f32_e32 v15, v15, v39
	v_sub_f32_e32 v35, v37, v17
	;; [unrolled: 2-line block ×3, first 2 shown]
	v_add_f32_e32 v5, v5, v38
	v_mov_b32_dpp v38, v21 row_shl:4 row_mask:0xf bank_mask:0x5 bound_ctrl:1
	v_cndmask_b32_e32 v15, v36, v15, vcc_lo
	v_cndmask_b32_e32 v17, v35, v17, vcc_lo
	v_mov_b32_dpp v35, v4 row_shl:4 row_mask:0xf bank_mask:0x5 bound_ctrl:1
	v_cndmask_b32_e32 v5, v37, v5, vcc_lo
	v_mov_b32_dpp v38, v21 row_shr:4 row_mask:0xf bank_mask:0xa bound_ctrl:1
	v_mov_b32_dpp v37, v8 row_shl:4 row_mask:0xf bank_mask:0x5 bound_ctrl:1
	v_cndmask_b32_e32 v20, v34, v20, vcc_lo
	v_mov_b32_dpp v35, v4 row_shr:4 row_mask:0xf bank_mask:0xa bound_ctrl:1
	s_delay_alu instid0(VALU_DEP_4) | instskip(NEXT) | instid1(VALU_DEP_4)
	v_dual_sub_f32 v36, v38, v21 :: v_dual_add_f32 v21, v21, v38
	v_mov_b32_dpp v37, v8 row_shr:4 row_mask:0xf bank_mask:0xa bound_ctrl:1
	s_delay_alu instid0(VALU_DEP_2) | instskip(SKIP_1) | instid1(VALU_DEP_1)
	v_cndmask_b32_e32 v21, v36, v21, vcc_lo
	v_mov_b32_dpp v36, v7 row_shl:4 row_mask:0xf bank_mask:0x5 bound_ctrl:1
	v_mov_b32_dpp v36, v7 row_shr:4 row_mask:0xf bank_mask:0xa bound_ctrl:1
	v_sub_f32_e32 v34, v35, v4
	v_dual_add_f32 v4, v4, v35 :: v_dual_sub_f32 v35, v37, v8
	v_add_f32_e32 v8, v8, v37
	v_mov_b32_dpp v37, v9 row_shl:4 row_mask:0xf bank_mask:0x5 bound_ctrl:1
	s_delay_alu instid0(VALU_DEP_2) | instskip(SKIP_1) | instid1(VALU_DEP_3)
	v_cndmask_b32_e32 v8, v35, v8, vcc_lo
	v_mov_b32_dpp v35, v16 row_shl:4 row_mask:0xf bank_mask:0x5 bound_ctrl:1
	v_mov_b32_dpp v37, v9 row_shr:4 row_mask:0xf bank_mask:0xa bound_ctrl:1
	s_delay_alu instid0(VALU_DEP_2) | instskip(NEXT) | instid1(VALU_DEP_2)
	v_mov_b32_dpp v35, v16 row_shr:4 row_mask:0xf bank_mask:0xa bound_ctrl:1
	v_sub_f32_e32 v38, v37, v9
	v_add_f32_e32 v9, v9, v37
	s_delay_alu instid0(VALU_DEP_3)
	v_dual_sub_f32 v39, v35, v16 :: v_dual_add_f32 v16, v16, v35
	v_sub_f32_e32 v35, v36, v7
	v_add_f32_e32 v7, v7, v36
	v_cndmask_b32_e32 v4, v34, v4, vcc_lo
	v_mov_b32_dpp v34, v3 row_shl:4 row_mask:0xf bank_mask:0x5 bound_ctrl:1
	v_cndmask_b32_e32 v9, v38, v9, vcc_lo
	v_sub_f32_dpp v38, v23, v23 row_ror:8 row_mask:0xf bank_mask:0xf bound_ctrl:1
	v_cndmask_b32_e32 v7, v35, v7, vcc_lo
	v_add_f32_dpp v23, v23, v23 row_ror:8 row_mask:0xf bank_mask:0xf bound_ctrl:1
	v_mov_b32_dpp v34, v3 row_shr:4 row_mask:0xf bank_mask:0xa bound_ctrl:1
	v_sub_f32_dpp v36, v10, v10 row_ror:8 row_mask:0xf bank_mask:0xf bound_ctrl:1
	v_add_f32_dpp v10, v10, v10 row_ror:8 row_mask:0xf bank_mask:0xf bound_ctrl:1
	s_delay_alu instid0(VALU_DEP_3) | instskip(SKIP_2) | instid1(VALU_DEP_2)
	v_dual_cndmask_b32 v16, v39, v16 :: v_dual_sub_f32 v37, v34, v3
	v_add_f32_e32 v3, v3, v34
	v_mov_b32_dpp v34, v2 row_shl:4 row_mask:0xf bank_mask:0x5 bound_ctrl:1
	v_cndmask_b32_e32 v3, v37, v3, vcc_lo
	s_delay_alu instid0(VALU_DEP_2) | instskip(SKIP_2) | instid1(VALU_DEP_3)
	v_mov_b32_dpp v34, v2 row_shr:4 row_mask:0xf bank_mask:0xa bound_ctrl:1
	v_sub_f32_dpp v37, v18, v18 row_ror:8 row_mask:0xf bank_mask:0xf bound_ctrl:1
	v_add_f32_dpp v18, v18, v18 row_ror:8 row_mask:0xf bank_mask:0xf bound_ctrl:1
	v_sub_f32_e32 v35, v34, v2
	v_add_f32_e32 v2, v2, v34
	v_and_b32_e32 v34, 8, v0
	s_delay_alu instid0(VALU_DEP_1) | instskip(SKIP_2) | instid1(VALU_DEP_3)
	v_cmp_eq_u32_e64 s0, 0, v34
	v_sub_f32_dpp v34, v22, v22 row_ror:8 row_mask:0xf bank_mask:0xf bound_ctrl:1
	v_add_f32_dpp v22, v22, v22 row_ror:8 row_mask:0xf bank_mask:0xf bound_ctrl:1
	v_cndmask_b32_e64 v23, v38, v23, s0
	v_sub_f32_dpp v38, v33, v33 row_ror:8 row_mask:0xf bank_mask:0xf bound_ctrl:1
	v_add_f32_dpp v33, v33, v33 row_ror:8 row_mask:0xf bank_mask:0xf bound_ctrl:1
	s_delay_alu instid0(VALU_DEP_4)
	v_cndmask_b32_e64 v22, v34, v22, s0
	v_sub_f32_dpp v34, v30, v30 row_ror:8 row_mask:0xf bank_mask:0xf bound_ctrl:1
	v_add_f32_dpp v30, v30, v30 row_ror:8 row_mask:0xf bank_mask:0xf bound_ctrl:1
	v_cndmask_b32_e64 v10, v36, v10, s0
	v_cndmask_b32_e64 v33, v38, v33, s0
	v_cndmask_b32_e32 v2, v35, v2, vcc_lo
	v_sub_f32_dpp v35, v31, v31 row_ror:8 row_mask:0xf bank_mask:0xf bound_ctrl:1
	v_add_f32_dpp v31, v31, v31 row_ror:8 row_mask:0xf bank_mask:0xf bound_ctrl:1
	v_cndmask_b32_e64 v18, v37, v18, s0
	v_sub_f32_dpp v36, v29, v29 row_ror:8 row_mask:0xf bank_mask:0xf bound_ctrl:1
	v_add_f32_dpp v29, v29, v29 row_ror:8 row_mask:0xf bank_mask:0xf bound_ctrl:1
	v_sub_f32_dpp v37, v32, v32 row_ror:8 row_mask:0xf bank_mask:0xf bound_ctrl:1
	v_add_f32_dpp v32, v32, v32 row_ror:8 row_mask:0xf bank_mask:0xf bound_ctrl:1
	v_cndmask_b32_e64 v30, v34, v30, s0
	v_cndmask_b32_e64 v31, v35, v31, s0
	v_sub_f32_dpp v34, v12, v12 row_ror:8 row_mask:0xf bank_mask:0xf bound_ctrl:1
	v_add_f32_dpp v12, v12, v12 row_ror:8 row_mask:0xf bank_mask:0xf bound_ctrl:1
	v_sub_f32_dpp v35, v24, v24 row_ror:8 row_mask:0xf bank_mask:0xf bound_ctrl:1
	v_add_f32_dpp v24, v24, v24 row_ror:8 row_mask:0xf bank_mask:0xf bound_ctrl:1
	v_cndmask_b32_e64 v29, v36, v29, s0
	;; [unrolled: 6-line block ×9, first 2 shown]
	v_cndmask_b32_e64 v8, v35, v8, s0
	v_sub_f32_dpp v34, v16, v16 row_ror:8 row_mask:0xf bank_mask:0xf bound_ctrl:1
	v_add_f32_dpp v16, v16, v16 row_ror:8 row_mask:0xf bank_mask:0xf bound_ctrl:1
	v_sub_f32_dpp v35, v7, v7 row_ror:8 row_mask:0xf bank_mask:0xf bound_ctrl:1
	v_add_f32_dpp v7, v7, v7 row_ror:8 row_mask:0xf bank_mask:0xf bound_ctrl:1
	;; [unrolled: 2-line block ×3, first 2 shown]
	v_cndmask_b32_e64 v21, v36, v21, s0
	v_cndmask_b32_e64 v9, v37, v9, s0
	v_sub_f32_dpp v36, v2, v2 row_ror:8 row_mask:0xf bank_mask:0xf bound_ctrl:1
	v_add_f32_dpp v2, v2, v2 row_ror:8 row_mask:0xf bank_mask:0xf bound_ctrl:1
	v_cndmask_b32_e64 v16, v34, v16, s0
	v_permlanex16_b32 v34, v10, s1, 0xfedcba98 op_sel:[1,1]
	v_cndmask_b32_e64 v7, v35, v7, s0
	v_permlanex16_b32 v35, v18, s1, 0xfedcba98 op_sel:[1,1]
	v_and_b32_e32 v0, 16, v0
	v_permlanex16_b32 v37, v23, s1, 0xfedcba98 op_sel:[1,1]
	v_cndmask_b32_e64 v13, v38, v13, s0
	v_cndmask_b32_e64 v2, v36, v2, s0
	v_sub_f32_e32 v36, v34, v10
	v_cmp_eq_u32_e32 vcc_lo, 0, v0
	v_add_f32_e32 v10, v10, v34
	v_sub_f32_e32 v34, v35, v18
	v_add_f32_e32 v18, v18, v35
	v_dual_sub_f32 v0, v37, v23 :: v_dual_add_f32 v23, v23, v37
	v_sub_f32_dpp v38, v11, v11 row_ror:8 row_mask:0xf bank_mask:0xf bound_ctrl:1
	v_add_f32_dpp v11, v11, v11 row_ror:8 row_mask:0xf bank_mask:0xf bound_ctrl:1
	v_permlanex16_b32 v35, v22, s1, 0xfedcba98 op_sel:[1,1]
	v_cndmask_b32_e32 v18, v34, v18, vcc_lo
	v_permlanex16_b32 v34, v30, s1, 0xfedcba98 op_sel:[1,1]
	v_cndmask_b32_e32 v0, v0, v23, vcc_lo
	v_permlanex16_b32 v23, v31, s1, 0xfedcba98 op_sel:[1,1]
	v_cndmask_b32_e64 v11, v38, v11, s0
	v_cndmask_b32_e32 v10, v36, v10, vcc_lo
	v_sub_f32_e32 v36, v35, v22
	v_add_f32_e32 v22, v22, v35
	v_sub_f32_e32 v35, v34, v30
	v_add_f32_e32 v30, v30, v34
	;; [unrolled: 2-line block ×3, first 2 shown]
	v_permlanex16_b32 v31, v29, s1, 0xfedcba98 op_sel:[1,1]
	v_cndmask_b32_e32 v22, v36, v22, vcc_lo
	v_cndmask_b32_e32 v30, v35, v30, vcc_lo
	v_permlanex16_b32 v35, v32, s1, 0xfedcba98 op_sel:[1,1]
	v_cndmask_b32_e32 v23, v34, v23, vcc_lo
	v_permlanex16_b32 v34, v33, s1, 0xfedcba98 op_sel:[1,1]
	v_dual_sub_f32 v36, v31, v29 :: v_dual_add_f32 v29, v29, v31
	s_delay_alu instid0(VALU_DEP_4) | instskip(NEXT) | instid1(VALU_DEP_3)
	v_dual_sub_f32 v31, v35, v32 :: v_dual_add_f32 v32, v32, v35
	v_sub_f32_e32 v35, v34, v33
	v_add_f32_e32 v33, v33, v34
	v_sub_f32_dpp v38, v15, v15 row_ror:8 row_mask:0xf bank_mask:0xf bound_ctrl:1
	v_add_f32_dpp v15, v15, v15 row_ror:8 row_mask:0xf bank_mask:0xf bound_ctrl:1
	v_permlanex16_b32 v34, v12, s1, 0xfedcba98 op_sel:[1,1]
	v_cndmask_b32_e32 v31, v31, v32, vcc_lo
	v_permlanex16_b32 v32, v24, s1, 0xfedcba98 op_sel:[1,1]
	v_cndmask_b32_e32 v33, v35, v33, vcc_lo
	v_permlanex16_b32 v35, v26, s1, 0xfedcba98 op_sel:[1,1]
	v_cndmask_b32_e64 v15, v38, v15, s0
	v_dual_cndmask_b32 v29, v36, v29 :: v_dual_sub_f32 v36, v34, v12
	v_add_f32_e32 v12, v12, v34
	v_sub_f32_e32 v34, v32, v24
	v_add_f32_e32 v24, v24, v32
	v_sub_f32_e32 v32, v35, v26
	v_add_f32_e32 v26, v26, v35
	v_sub_f32_dpp v38, v3, v3 row_ror:8 row_mask:0xf bank_mask:0xf bound_ctrl:1
	v_add_f32_dpp v3, v3, v3 row_ror:8 row_mask:0xf bank_mask:0xf bound_ctrl:1
	v_permlanex16_b32 v35, v28, s1, 0xfedcba98 op_sel:[1,1]
	v_cndmask_b32_e32 v24, v34, v24, vcc_lo
	v_permlanex16_b32 v34, v13, s1, 0xfedcba98 op_sel:[1,1]
	v_cndmask_b32_e32 v26, v32, v26, vcc_lo
	v_permlanex16_b32 v32, v25, s1, 0xfedcba98 op_sel:[1,1]
	v_cndmask_b32_e64 v3, v38, v3, s0
	v_cndmask_b32_e32 v12, v36, v12, vcc_lo
	v_sub_f32_e32 v36, v35, v28
	v_dual_add_f32 v28, v28, v35 :: v_dual_sub_f32 v35, v34, v13
	v_dual_add_f32 v13, v13, v34 :: v_dual_sub_f32 v34, v32, v25
	v_add_f32_e32 v25, v25, v32
	v_permlanex16_b32 v32, v27, s1, 0xfedcba98 op_sel:[1,1]
	v_permlanex16_b32 v37, v7, s1, 0xfedcba98 op_sel:[1,1]
	s_delay_alu instid0(VALU_DEP_4)
	v_cndmask_b32_e32 v13, v35, v13, vcc_lo
	v_permlanex16_b32 v35, v6, s1, 0xfedcba98 op_sel:[1,1]
	v_cndmask_b32_e32 v25, v34, v25, vcc_lo
	v_permlanex16_b32 v34, v14, s1, 0xfedcba98 op_sel:[1,1]
	v_cndmask_b32_e32 v28, v36, v28, vcc_lo
	v_dual_sub_f32 v36, v32, v27 :: v_dual_add_f32 v27, v27, v32
	v_sub_f32_e32 v32, v35, v6
	v_add_f32_e32 v6, v6, v35
	v_sub_f32_e32 v35, v34, v14
	v_dual_add_f32 v14, v14, v34 :: v_dual_mul_f32 v23, 0x3d000000, v23
	v_permlanex16_b32 v34, v11, s1, 0xfedcba98 op_sel:[1,1]
	s_delay_alu instid0(VALU_DEP_4) | instskip(SKIP_1) | instid1(VALU_DEP_4)
	v_cndmask_b32_e32 v6, v32, v6, vcc_lo
	v_permlanex16_b32 v32, v19, s1, 0xfedcba98 op_sel:[1,1]
	v_dual_cndmask_b32 v14, v35, v14 :: v_dual_mul_f32 v29, 0x3d000000, v29
	v_permlanex16_b32 v35, v17, s1, 0xfedcba98 op_sel:[1,1]
	v_cndmask_b32_e32 v27, v36, v27, vcc_lo
	v_dual_sub_f32 v36, v34, v11 :: v_dual_add_f32 v11, v11, v34
	v_dual_sub_f32 v34, v32, v19 :: v_dual_mul_f32 v13, 0x3d000000, v13
	v_add_f32_e32 v19, v19, v32
	s_delay_alu instid0(VALU_DEP_4) | instskip(SKIP_2) | instid1(VALU_DEP_4)
	v_dual_sub_f32 v32, v35, v17 :: v_dual_mul_f32 v27, 0x3d000000, v27
	v_add_f32_e32 v17, v17, v35
	v_permlanex16_b32 v35, v5, s1, 0xfedcba98 op_sel:[1,1]
	v_cndmask_b32_e32 v19, v34, v19, vcc_lo
	v_permlanex16_b32 v34, v20, s1, 0xfedcba98 op_sel:[1,1]
	v_cndmask_b32_e32 v11, v36, v11, vcc_lo
	v_cndmask_b32_e32 v17, v32, v17, vcc_lo
	v_permlanex16_b32 v32, v15, s1, 0xfedcba98 op_sel:[1,1]
	v_dual_sub_f32 v36, v35, v5 :: v_dual_add_f32 v5, v5, v35
	s_delay_alu instid0(VALU_DEP_4) | instskip(SKIP_1) | instid1(VALU_DEP_4)
	v_mul_f32_e32 v11, 0x3d000000, v11
	v_dual_sub_f32 v35, v34, v20 :: v_dual_add_f32 v20, v20, v34
	v_dual_mul_f32 v25, 0x3d000000, v25 :: v_dual_sub_f32 v34, v32, v15
	v_mul_f32_e32 v17, 0x3d000000, v17
	v_add_f32_e32 v15, v15, v32
	v_permlanex16_b32 v32, v4, s1, 0xfedcba98 op_sel:[1,1]
	v_dual_cndmask_b32 v20, v35, v20 :: v_dual_mul_f32 v19, 0x3d000000, v19
	v_permlanex16_b32 v35, v8, s1, 0xfedcba98 op_sel:[1,1]
	s_delay_alu instid0(VALU_DEP_4) | instskip(SKIP_3) | instid1(VALU_DEP_4)
	v_cndmask_b32_e32 v15, v34, v15, vcc_lo
	v_permlanex16_b32 v34, v21, s1, 0xfedcba98 op_sel:[1,1]
	v_cndmask_b32_e32 v5, v36, v5, vcc_lo
	v_sub_f32_e32 v36, v32, v4
	v_dual_add_f32 v4, v4, v32 :: v_dual_mul_f32 v15, 0x3d000000, v15
	v_sub_f32_e32 v32, v35, v8
	v_dual_add_f32 v8, v8, v35 :: v_dual_sub_f32 v35, v34, v21
	v_add_f32_e32 v21, v21, v34
	v_permlanex16_b32 v34, v9, s1, 0xfedcba98 op_sel:[1,1]
	v_cndmask_b32_e32 v4, v36, v4, vcc_lo
	v_mul_f32_e32 v0, 0x3d000000, v0
	s_delay_alu instid0(VALU_DEP_4) | instskip(NEXT) | instid1(VALU_DEP_4)
	v_dual_mul_f32 v12, 0x3d000000, v12 :: v_dual_cndmask_b32 v21, v35, v21
	v_sub_f32_e32 v35, v34, v9
	v_add_f32_e32 v9, v9, v34
	v_permlanex16_b32 v34, v16, s1, 0xfedcba98 op_sel:[1,1]
	s_delay_alu instid0(VALU_DEP_4) | instskip(SKIP_2) | instid1(VALU_DEP_4)
	v_dual_mul_f32 v24, 0x3d000000, v24 :: v_dual_mul_f32 v21, 0x3d000000, v21
	v_cndmask_b32_e32 v8, v32, v8, vcc_lo
	v_permlanex16_b32 v32, v3, s1, 0xfedcba98 op_sel:[1,1]
	v_sub_f32_e32 v38, v34, v16
	v_add_f32_e32 v16, v16, v34
	v_dual_sub_f32 v34, v37, v7 :: v_dual_add_f32 v7, v7, v37
	s_delay_alu instid0(VALU_DEP_4) | instskip(SKIP_3) | instid1(VALU_DEP_4)
	v_dual_sub_f32 v36, v32, v3 :: v_dual_add_f32 v3, v3, v32
	v_permlanex16_b32 v32, v2, s1, 0xfedcba98 op_sel:[1,1]
	v_cndmask_b32_e32 v9, v35, v9, vcc_lo
	v_mul_f32_e32 v35, 0x3d000000, v8
	v_dual_cndmask_b32 v16, v38, v16 :: v_dual_cndmask_b32 v3, v36, v3
	s_delay_alu instid0(VALU_DEP_4) | instskip(SKIP_3) | instid1(VALU_DEP_4)
	v_dual_sub_f32 v37, v32, v2 :: v_dual_add_f32 v2, v2, v32
	v_dual_cndmask_b32 v7, v34, v7 :: v_dual_mul_f32 v26, 0x3d000000, v26
	v_mul_f32_e32 v28, 0x3d000000, v28
	v_mul_f32_e32 v6, 0x3d000000, v6
	v_cndmask_b32_e32 v32, v37, v2, vcc_lo
	v_mul_f32_e32 v2, 0x3d000000, v10
	v_mul_f32_e32 v10, 0x3d000000, v18
	;; [unrolled: 1-line block ×4, first 2 shown]
	v_dual_mul_f32 v30, 0x3d000000, v31 :: v_dual_mul_f32 v31, 0x3d000000, v33
	v_dual_mul_f32 v14, 0x3d000000, v14 :: v_dual_mul_f32 v33, 0x3d000000, v5
	v_mul_f32_e32 v20, 0x3d000000, v20
	v_dual_mul_f32 v36, 0x3d000000, v9 :: v_dual_mul_f32 v37, 0x3d000000, v3
	v_mul_f32_e32 v34, 0x3d000000, v4
	v_mul_f32_e32 v16, 0x3d000000, v16
	;; [unrolled: 1-line block ×3, first 2 shown]
	s_add_u32 s0, s4, s8
	v_perm_b32 v5, v30, v29, 0x7060302
	v_perm_b32 v4, v23, v22, 0x7060302
	v_perm_b32 v3, v18, v0, 0x7060302
	v_perm_b32 v2, v10, v2, 0x7060302
	v_mul_f32_e32 v0, 0x3d000000, v32
	s_addc_u32 s1, s5, s9
	s_lshl_b32 s2, s10, 11
	s_and_b32 s1, s1, 0xffff
	v_perm_b32 v9, v15, v20, 0x7060302
	buffer_store_b128 v[2:5], v1, s[0:3], 0 offen
	v_perm_b32 v5, v27, v25, 0x7060302
	v_perm_b32 v4, v13, v28, 0x7060302
	v_perm_b32 v3, v26, v24, 0x7060302
	v_perm_b32 v2, v12, v31, 0x7060302
	v_perm_b32 v8, v33, v17, 0x7060302
	v_perm_b32 v7, v19, v11, 0x7060302
	v_perm_b32 v6, v14, v6, 0x7060302
	v_perm_b32 v13, v0, v38, 0x7060302
	v_perm_b32 v12, v16, v37, 0x7060302
	v_perm_b32 v11, v36, v21, 0x7060302
	v_perm_b32 v10, v35, v34, 0x7060302
	;;#ASMSTART
	s_nop 0
	;;#ASMEND
	buffer_store_b128 v[2:5], v1, s[0:3], 16 offen
	;;#ASMSTART
	s_nop 0
	;;#ASMEND
	buffer_store_b128 v[6:9], v1, s[0:3], 32 offen
	;;#ASMSTART
	s_nop 0
	;;#ASMEND
	buffer_store_b128 v[10:13], v1, s[0:3], 48 offen
	;;#ASMSTART
	s_nop 0
	;;#ASMEND
	s_nop 0
	s_sendmsg sendmsg(MSG_DEALLOC_VGPRS)
	s_endpgm
	.section	.rodata,"a",@progbits
	.p2align	6, 0x0
	.amdhsa_kernel _ZN5aiter50hadamard_rotate_activation_fp4quant_inplace_kernelItLi1024ELb0ELi32EEEvPT_PKS1_iii
		.amdhsa_group_segment_fixed_size 0
		.amdhsa_private_segment_fixed_size 0
		.amdhsa_kernarg_size 28
		.amdhsa_user_sgpr_count 15
		.amdhsa_user_sgpr_dispatch_ptr 0
		.amdhsa_user_sgpr_queue_ptr 0
		.amdhsa_user_sgpr_kernarg_segment_ptr 1
		.amdhsa_user_sgpr_dispatch_id 0
		.amdhsa_user_sgpr_private_segment_size 0
		.amdhsa_wavefront_size32 1
		.amdhsa_uses_dynamic_stack 0
		.amdhsa_enable_private_segment 0
		.amdhsa_system_sgpr_workgroup_id_x 1
		.amdhsa_system_sgpr_workgroup_id_y 0
		.amdhsa_system_sgpr_workgroup_id_z 0
		.amdhsa_system_sgpr_workgroup_info 0
		.amdhsa_system_vgpr_workitem_id 0
		.amdhsa_next_free_vgpr 67
		.amdhsa_next_free_sgpr 16
		.amdhsa_reserve_vcc 1
		.amdhsa_float_round_mode_32 0
		.amdhsa_float_round_mode_16_64 0
		.amdhsa_float_denorm_mode_32 3
		.amdhsa_float_denorm_mode_16_64 3
		.amdhsa_dx10_clamp 1
		.amdhsa_ieee_mode 1
		.amdhsa_fp16_overflow 0
		.amdhsa_workgroup_processor_mode 1
		.amdhsa_memory_ordered 1
		.amdhsa_forward_progress 0
		.amdhsa_shared_vgpr_count 0
		.amdhsa_exception_fp_ieee_invalid_op 0
		.amdhsa_exception_fp_denorm_src 0
		.amdhsa_exception_fp_ieee_div_zero 0
		.amdhsa_exception_fp_ieee_overflow 0
		.amdhsa_exception_fp_ieee_underflow 0
		.amdhsa_exception_fp_ieee_inexact 0
		.amdhsa_exception_int_div_zero 0
	.end_amdhsa_kernel
	.section	.text._ZN5aiter50hadamard_rotate_activation_fp4quant_inplace_kernelItLi1024ELb0ELi32EEEvPT_PKS1_iii,"axG",@progbits,_ZN5aiter50hadamard_rotate_activation_fp4quant_inplace_kernelItLi1024ELb0ELi32EEEvPT_PKS1_iii,comdat
.Lfunc_end16:
	.size	_ZN5aiter50hadamard_rotate_activation_fp4quant_inplace_kernelItLi1024ELb0ELi32EEEvPT_PKS1_iii, .Lfunc_end16-_ZN5aiter50hadamard_rotate_activation_fp4quant_inplace_kernelItLi1024ELb0ELi32EEEvPT_PKS1_iii
                                        ; -- End function
	.section	.AMDGPU.csdata,"",@progbits
; Kernel info:
; codeLenInByte = 5672
; NumSgprs: 18
; NumVgprs: 67
; ScratchSize: 0
; MemoryBound: 0
; FloatMode: 240
; IeeeMode: 1
; LDSByteSize: 0 bytes/workgroup (compile time only)
; SGPRBlocks: 2
; VGPRBlocks: 8
; NumSGPRsForWavesPerEU: 18
; NumVGPRsForWavesPerEU: 67
; Occupancy: 16
; WaveLimiterHint : 0
; COMPUTE_PGM_RSRC2:SCRATCH_EN: 0
; COMPUTE_PGM_RSRC2:USER_SGPR: 15
; COMPUTE_PGM_RSRC2:TRAP_HANDLER: 0
; COMPUTE_PGM_RSRC2:TGID_X_EN: 1
; COMPUTE_PGM_RSRC2:TGID_Y_EN: 0
; COMPUTE_PGM_RSRC2:TGID_Z_EN: 0
; COMPUTE_PGM_RSRC2:TIDIG_COMP_CNT: 0
	.section	.text._ZN5aiter55rope_hadamard_rotate_activation_fp4quant_inplace_kernelIDF16_Li128ELb1ELi16EEEvPT_PKS1_S4_S4_PKliiiii,"axG",@progbits,_ZN5aiter55rope_hadamard_rotate_activation_fp4quant_inplace_kernelIDF16_Li128ELb1ELi16EEEvPT_PKS1_S4_S4_PKliiiii,comdat
	.protected	_ZN5aiter55rope_hadamard_rotate_activation_fp4quant_inplace_kernelIDF16_Li128ELb1ELi16EEEvPT_PKS1_S4_S4_PKliiiii ; -- Begin function _ZN5aiter55rope_hadamard_rotate_activation_fp4quant_inplace_kernelIDF16_Li128ELb1ELi16EEEvPT_PKS1_S4_S4_PKliiiii
	.globl	_ZN5aiter55rope_hadamard_rotate_activation_fp4quant_inplace_kernelIDF16_Li128ELb1ELi16EEEvPT_PKS1_S4_S4_PKliiiii
	.p2align	8
	.type	_ZN5aiter55rope_hadamard_rotate_activation_fp4quant_inplace_kernelIDF16_Li128ELb1ELi16EEEvPT_PKS1_S4_S4_PKliiiii,@function
_ZN5aiter55rope_hadamard_rotate_activation_fp4quant_inplace_kernelIDF16_Li128ELb1ELi16EEEvPT_PKS1_S4_S4_PKliiiii: ; @_ZN5aiter55rope_hadamard_rotate_activation_fp4quant_inplace_kernelIDF16_Li128ELb1ELi16EEEvPT_PKS1_S4_S4_PKliiiii
; %bb.0:
	s_clause 0x2
	s_load_b32 s6, s[0:1], 0x34
	s_load_b32 s8, s[0:1], 0x28
	s_load_b64 s[4:5], s[0:1], 0x0
	s_mov_b32 s0, 0
	s_lshl_b32 s9, s15, 2
	s_mov_b32 s3, s0
	s_mov_b32 s1, s0
	;; [unrolled: 1-line block ×3, first 2 shown]
	s_delay_alu instid0(SALU_CYCLE_1)
	v_dual_mov_b32 v4, s3 :: v_dual_mov_b32 v3, s2
	v_dual_mov_b32 v2, s1 :: v_dual_mov_b32 v1, s0
	v_lshlrev_b32_e32 v0, 5, v0
	s_mov_b32 s7, -1
	s_waitcnt lgkmcnt(0)
	s_mul_hi_i32 s1, s6, s9
	s_mul_i32 s0, s6, s9
	s_sub_i32 s2, s8, s9
	s_lshl_b64 s[0:1], s[0:1], 1
	s_min_i32 s2, s2, 4
	s_add_u32 s4, s4, s0
	s_addc_u32 s0, s5, s1
	s_lshl_b32 s6, s2, 8
	s_and_b32 s5, s0, 0xffff
	s_clause 0x1
	buffer_store_b128 v[1:4], v0, s[4:7], 0 offen
	buffer_store_b128 v[1:4], v0, s[4:7], 16 offen
	s_nop 0
	s_sendmsg sendmsg(MSG_DEALLOC_VGPRS)
	s_endpgm
	.section	.rodata,"a",@progbits
	.p2align	6, 0x0
	.amdhsa_kernel _ZN5aiter55rope_hadamard_rotate_activation_fp4quant_inplace_kernelIDF16_Li128ELb1ELi16EEEvPT_PKS1_S4_S4_PKliiiii
		.amdhsa_group_segment_fixed_size 0
		.amdhsa_private_segment_fixed_size 0
		.amdhsa_kernarg_size 60
		.amdhsa_user_sgpr_count 15
		.amdhsa_user_sgpr_dispatch_ptr 0
		.amdhsa_user_sgpr_queue_ptr 0
		.amdhsa_user_sgpr_kernarg_segment_ptr 1
		.amdhsa_user_sgpr_dispatch_id 0
		.amdhsa_user_sgpr_private_segment_size 0
		.amdhsa_wavefront_size32 1
		.amdhsa_uses_dynamic_stack 0
		.amdhsa_enable_private_segment 0
		.amdhsa_system_sgpr_workgroup_id_x 1
		.amdhsa_system_sgpr_workgroup_id_y 0
		.amdhsa_system_sgpr_workgroup_id_z 0
		.amdhsa_system_sgpr_workgroup_info 0
		.amdhsa_system_vgpr_workitem_id 0
		.amdhsa_next_free_vgpr 5
		.amdhsa_next_free_sgpr 16
		.amdhsa_reserve_vcc 0
		.amdhsa_float_round_mode_32 0
		.amdhsa_float_round_mode_16_64 0
		.amdhsa_float_denorm_mode_32 3
		.amdhsa_float_denorm_mode_16_64 3
		.amdhsa_dx10_clamp 1
		.amdhsa_ieee_mode 1
		.amdhsa_fp16_overflow 0
		.amdhsa_workgroup_processor_mode 1
		.amdhsa_memory_ordered 1
		.amdhsa_forward_progress 0
		.amdhsa_shared_vgpr_count 0
		.amdhsa_exception_fp_ieee_invalid_op 0
		.amdhsa_exception_fp_denorm_src 0
		.amdhsa_exception_fp_ieee_div_zero 0
		.amdhsa_exception_fp_ieee_overflow 0
		.amdhsa_exception_fp_ieee_underflow 0
		.amdhsa_exception_fp_ieee_inexact 0
		.amdhsa_exception_int_div_zero 0
	.end_amdhsa_kernel
	.section	.text._ZN5aiter55rope_hadamard_rotate_activation_fp4quant_inplace_kernelIDF16_Li128ELb1ELi16EEEvPT_PKS1_S4_S4_PKliiiii,"axG",@progbits,_ZN5aiter55rope_hadamard_rotate_activation_fp4quant_inplace_kernelIDF16_Li128ELb1ELi16EEEvPT_PKS1_S4_S4_PKliiiii,comdat
.Lfunc_end17:
	.size	_ZN5aiter55rope_hadamard_rotate_activation_fp4quant_inplace_kernelIDF16_Li128ELb1ELi16EEEvPT_PKS1_S4_S4_PKliiiii, .Lfunc_end17-_ZN5aiter55rope_hadamard_rotate_activation_fp4quant_inplace_kernelIDF16_Li128ELb1ELi16EEEvPT_PKS1_S4_S4_PKliiiii
                                        ; -- End function
	.section	.AMDGPU.csdata,"",@progbits
; Kernel info:
; codeLenInByte = 152
; NumSgprs: 16
; NumVgprs: 5
; ScratchSize: 0
; MemoryBound: 0
; FloatMode: 240
; IeeeMode: 1
; LDSByteSize: 0 bytes/workgroup (compile time only)
; SGPRBlocks: 1
; VGPRBlocks: 0
; NumSGPRsForWavesPerEU: 16
; NumVGPRsForWavesPerEU: 5
; Occupancy: 16
; WaveLimiterHint : 0
; COMPUTE_PGM_RSRC2:SCRATCH_EN: 0
; COMPUTE_PGM_RSRC2:USER_SGPR: 15
; COMPUTE_PGM_RSRC2:TRAP_HANDLER: 0
; COMPUTE_PGM_RSRC2:TGID_X_EN: 1
; COMPUTE_PGM_RSRC2:TGID_Y_EN: 0
; COMPUTE_PGM_RSRC2:TGID_Z_EN: 0
; COMPUTE_PGM_RSRC2:TIDIG_COMP_CNT: 0
	.section	.text._ZN5aiter55rope_hadamard_rotate_activation_fp4quant_inplace_kernelItLi128ELb1ELi16EEEvPT_PKS1_S4_S4_PKliiiii,"axG",@progbits,_ZN5aiter55rope_hadamard_rotate_activation_fp4quant_inplace_kernelItLi128ELb1ELi16EEEvPT_PKS1_S4_S4_PKliiiii,comdat
	.protected	_ZN5aiter55rope_hadamard_rotate_activation_fp4quant_inplace_kernelItLi128ELb1ELi16EEEvPT_PKS1_S4_S4_PKliiiii ; -- Begin function _ZN5aiter55rope_hadamard_rotate_activation_fp4quant_inplace_kernelItLi128ELb1ELi16EEEvPT_PKS1_S4_S4_PKliiiii
	.globl	_ZN5aiter55rope_hadamard_rotate_activation_fp4quant_inplace_kernelItLi128ELb1ELi16EEEvPT_PKS1_S4_S4_PKliiiii
	.p2align	8
	.type	_ZN5aiter55rope_hadamard_rotate_activation_fp4quant_inplace_kernelItLi128ELb1ELi16EEEvPT_PKS1_S4_S4_PKliiiii,@function
_ZN5aiter55rope_hadamard_rotate_activation_fp4quant_inplace_kernelItLi128ELb1ELi16EEEvPT_PKS1_S4_S4_PKliiiii: ; @_ZN5aiter55rope_hadamard_rotate_activation_fp4quant_inplace_kernelItLi128ELb1ELi16EEEvPT_PKS1_S4_S4_PKliiiii
; %bb.0:
	s_clause 0x2
	s_load_b32 s6, s[0:1], 0x34
	s_load_b32 s8, s[0:1], 0x28
	s_load_b64 s[4:5], s[0:1], 0x0
	s_mov_b32 s0, 0
	s_lshl_b32 s9, s15, 2
	s_mov_b32 s3, s0
	s_mov_b32 s1, s0
	;; [unrolled: 1-line block ×3, first 2 shown]
	s_delay_alu instid0(SALU_CYCLE_1)
	v_dual_mov_b32 v4, s3 :: v_dual_mov_b32 v3, s2
	v_dual_mov_b32 v2, s1 :: v_dual_mov_b32 v1, s0
	v_lshlrev_b32_e32 v0, 5, v0
	s_mov_b32 s7, -1
	s_waitcnt lgkmcnt(0)
	s_mul_hi_i32 s1, s6, s9
	s_mul_i32 s0, s6, s9
	s_sub_i32 s2, s8, s9
	s_lshl_b64 s[0:1], s[0:1], 1
	s_min_i32 s2, s2, 4
	s_add_u32 s4, s4, s0
	s_addc_u32 s0, s5, s1
	s_lshl_b32 s6, s2, 8
	s_and_b32 s5, s0, 0xffff
	s_clause 0x1
	buffer_store_b128 v[1:4], v0, s[4:7], 0 offen
	buffer_store_b128 v[1:4], v0, s[4:7], 16 offen
	s_nop 0
	s_sendmsg sendmsg(MSG_DEALLOC_VGPRS)
	s_endpgm
	.section	.rodata,"a",@progbits
	.p2align	6, 0x0
	.amdhsa_kernel _ZN5aiter55rope_hadamard_rotate_activation_fp4quant_inplace_kernelItLi128ELb1ELi16EEEvPT_PKS1_S4_S4_PKliiiii
		.amdhsa_group_segment_fixed_size 0
		.amdhsa_private_segment_fixed_size 0
		.amdhsa_kernarg_size 60
		.amdhsa_user_sgpr_count 15
		.amdhsa_user_sgpr_dispatch_ptr 0
		.amdhsa_user_sgpr_queue_ptr 0
		.amdhsa_user_sgpr_kernarg_segment_ptr 1
		.amdhsa_user_sgpr_dispatch_id 0
		.amdhsa_user_sgpr_private_segment_size 0
		.amdhsa_wavefront_size32 1
		.amdhsa_uses_dynamic_stack 0
		.amdhsa_enable_private_segment 0
		.amdhsa_system_sgpr_workgroup_id_x 1
		.amdhsa_system_sgpr_workgroup_id_y 0
		.amdhsa_system_sgpr_workgroup_id_z 0
		.amdhsa_system_sgpr_workgroup_info 0
		.amdhsa_system_vgpr_workitem_id 0
		.amdhsa_next_free_vgpr 5
		.amdhsa_next_free_sgpr 16
		.amdhsa_reserve_vcc 0
		.amdhsa_float_round_mode_32 0
		.amdhsa_float_round_mode_16_64 0
		.amdhsa_float_denorm_mode_32 3
		.amdhsa_float_denorm_mode_16_64 3
		.amdhsa_dx10_clamp 1
		.amdhsa_ieee_mode 1
		.amdhsa_fp16_overflow 0
		.amdhsa_workgroup_processor_mode 1
		.amdhsa_memory_ordered 1
		.amdhsa_forward_progress 0
		.amdhsa_shared_vgpr_count 0
		.amdhsa_exception_fp_ieee_invalid_op 0
		.amdhsa_exception_fp_denorm_src 0
		.amdhsa_exception_fp_ieee_div_zero 0
		.amdhsa_exception_fp_ieee_overflow 0
		.amdhsa_exception_fp_ieee_underflow 0
		.amdhsa_exception_fp_ieee_inexact 0
		.amdhsa_exception_int_div_zero 0
	.end_amdhsa_kernel
	.section	.text._ZN5aiter55rope_hadamard_rotate_activation_fp4quant_inplace_kernelItLi128ELb1ELi16EEEvPT_PKS1_S4_S4_PKliiiii,"axG",@progbits,_ZN5aiter55rope_hadamard_rotate_activation_fp4quant_inplace_kernelItLi128ELb1ELi16EEEvPT_PKS1_S4_S4_PKliiiii,comdat
.Lfunc_end18:
	.size	_ZN5aiter55rope_hadamard_rotate_activation_fp4quant_inplace_kernelItLi128ELb1ELi16EEEvPT_PKS1_S4_S4_PKliiiii, .Lfunc_end18-_ZN5aiter55rope_hadamard_rotate_activation_fp4quant_inplace_kernelItLi128ELb1ELi16EEEvPT_PKS1_S4_S4_PKliiiii
                                        ; -- End function
	.section	.AMDGPU.csdata,"",@progbits
; Kernel info:
; codeLenInByte = 152
; NumSgprs: 16
; NumVgprs: 5
; ScratchSize: 0
; MemoryBound: 0
; FloatMode: 240
; IeeeMode: 1
; LDSByteSize: 0 bytes/workgroup (compile time only)
; SGPRBlocks: 1
; VGPRBlocks: 0
; NumSGPRsForWavesPerEU: 16
; NumVGPRsForWavesPerEU: 5
; Occupancy: 16
; WaveLimiterHint : 0
; COMPUTE_PGM_RSRC2:SCRATCH_EN: 0
; COMPUTE_PGM_RSRC2:USER_SGPR: 15
; COMPUTE_PGM_RSRC2:TRAP_HANDLER: 0
; COMPUTE_PGM_RSRC2:TGID_X_EN: 1
; COMPUTE_PGM_RSRC2:TGID_Y_EN: 0
; COMPUTE_PGM_RSRC2:TGID_Z_EN: 0
; COMPUTE_PGM_RSRC2:TIDIG_COMP_CNT: 0
	.section	.text._ZN5aiter55rope_hadamard_rotate_activation_fp4quant_inplace_kernelIDF16_Li256ELb1ELi16EEEvPT_PKS1_S4_S4_PKliiiii,"axG",@progbits,_ZN5aiter55rope_hadamard_rotate_activation_fp4quant_inplace_kernelIDF16_Li256ELb1ELi16EEEvPT_PKS1_S4_S4_PKliiiii,comdat
	.protected	_ZN5aiter55rope_hadamard_rotate_activation_fp4quant_inplace_kernelIDF16_Li256ELb1ELi16EEEvPT_PKS1_S4_S4_PKliiiii ; -- Begin function _ZN5aiter55rope_hadamard_rotate_activation_fp4quant_inplace_kernelIDF16_Li256ELb1ELi16EEEvPT_PKS1_S4_S4_PKliiiii
	.globl	_ZN5aiter55rope_hadamard_rotate_activation_fp4quant_inplace_kernelIDF16_Li256ELb1ELi16EEEvPT_PKS1_S4_S4_PKliiiii
	.p2align	8
	.type	_ZN5aiter55rope_hadamard_rotate_activation_fp4quant_inplace_kernelIDF16_Li256ELb1ELi16EEEvPT_PKS1_S4_S4_PKliiiii,@function
_ZN5aiter55rope_hadamard_rotate_activation_fp4quant_inplace_kernelIDF16_Li256ELb1ELi16EEEvPT_PKS1_S4_S4_PKliiiii: ; @_ZN5aiter55rope_hadamard_rotate_activation_fp4quant_inplace_kernelIDF16_Li256ELb1ELi16EEEvPT_PKS1_S4_S4_PKliiiii
; %bb.0:
	s_clause 0x2
	s_load_b32 s6, s[0:1], 0x34
	s_load_b32 s8, s[0:1], 0x28
	s_load_b64 s[4:5], s[0:1], 0x0
	s_mov_b32 s0, 0
	s_lshl_b32 s9, s15, 1
	s_mov_b32 s3, s0
	s_mov_b32 s1, s0
	;; [unrolled: 1-line block ×3, first 2 shown]
	s_delay_alu instid0(SALU_CYCLE_1)
	v_dual_mov_b32 v4, s3 :: v_dual_mov_b32 v3, s2
	v_dual_mov_b32 v2, s1 :: v_dual_mov_b32 v1, s0
	v_lshlrev_b32_e32 v0, 5, v0
	s_mov_b32 s7, -1
	s_waitcnt lgkmcnt(0)
	s_mul_hi_i32 s1, s6, s9
	s_mul_i32 s0, s6, s9
	s_sub_i32 s2, s8, s9
	s_lshl_b64 s[0:1], s[0:1], 1
	s_min_i32 s2, s2, 2
	s_add_u32 s4, s4, s0
	s_addc_u32 s0, s5, s1
	s_lshl_b32 s6, s2, 9
	s_and_b32 s5, s0, 0xffff
	s_clause 0x1
	buffer_store_b128 v[1:4], v0, s[4:7], 0 offen
	buffer_store_b128 v[1:4], v0, s[4:7], 16 offen
	s_nop 0
	s_sendmsg sendmsg(MSG_DEALLOC_VGPRS)
	s_endpgm
	.section	.rodata,"a",@progbits
	.p2align	6, 0x0
	.amdhsa_kernel _ZN5aiter55rope_hadamard_rotate_activation_fp4quant_inplace_kernelIDF16_Li256ELb1ELi16EEEvPT_PKS1_S4_S4_PKliiiii
		.amdhsa_group_segment_fixed_size 0
		.amdhsa_private_segment_fixed_size 0
		.amdhsa_kernarg_size 60
		.amdhsa_user_sgpr_count 15
		.amdhsa_user_sgpr_dispatch_ptr 0
		.amdhsa_user_sgpr_queue_ptr 0
		.amdhsa_user_sgpr_kernarg_segment_ptr 1
		.amdhsa_user_sgpr_dispatch_id 0
		.amdhsa_user_sgpr_private_segment_size 0
		.amdhsa_wavefront_size32 1
		.amdhsa_uses_dynamic_stack 0
		.amdhsa_enable_private_segment 0
		.amdhsa_system_sgpr_workgroup_id_x 1
		.amdhsa_system_sgpr_workgroup_id_y 0
		.amdhsa_system_sgpr_workgroup_id_z 0
		.amdhsa_system_sgpr_workgroup_info 0
		.amdhsa_system_vgpr_workitem_id 0
		.amdhsa_next_free_vgpr 5
		.amdhsa_next_free_sgpr 16
		.amdhsa_reserve_vcc 0
		.amdhsa_float_round_mode_32 0
		.amdhsa_float_round_mode_16_64 0
		.amdhsa_float_denorm_mode_32 3
		.amdhsa_float_denorm_mode_16_64 3
		.amdhsa_dx10_clamp 1
		.amdhsa_ieee_mode 1
		.amdhsa_fp16_overflow 0
		.amdhsa_workgroup_processor_mode 1
		.amdhsa_memory_ordered 1
		.amdhsa_forward_progress 0
		.amdhsa_shared_vgpr_count 0
		.amdhsa_exception_fp_ieee_invalid_op 0
		.amdhsa_exception_fp_denorm_src 0
		.amdhsa_exception_fp_ieee_div_zero 0
		.amdhsa_exception_fp_ieee_overflow 0
		.amdhsa_exception_fp_ieee_underflow 0
		.amdhsa_exception_fp_ieee_inexact 0
		.amdhsa_exception_int_div_zero 0
	.end_amdhsa_kernel
	.section	.text._ZN5aiter55rope_hadamard_rotate_activation_fp4quant_inplace_kernelIDF16_Li256ELb1ELi16EEEvPT_PKS1_S4_S4_PKliiiii,"axG",@progbits,_ZN5aiter55rope_hadamard_rotate_activation_fp4quant_inplace_kernelIDF16_Li256ELb1ELi16EEEvPT_PKS1_S4_S4_PKliiiii,comdat
.Lfunc_end19:
	.size	_ZN5aiter55rope_hadamard_rotate_activation_fp4quant_inplace_kernelIDF16_Li256ELb1ELi16EEEvPT_PKS1_S4_S4_PKliiiii, .Lfunc_end19-_ZN5aiter55rope_hadamard_rotate_activation_fp4quant_inplace_kernelIDF16_Li256ELb1ELi16EEEvPT_PKS1_S4_S4_PKliiiii
                                        ; -- End function
	.section	.AMDGPU.csdata,"",@progbits
; Kernel info:
; codeLenInByte = 152
; NumSgprs: 16
; NumVgprs: 5
; ScratchSize: 0
; MemoryBound: 0
; FloatMode: 240
; IeeeMode: 1
; LDSByteSize: 0 bytes/workgroup (compile time only)
; SGPRBlocks: 1
; VGPRBlocks: 0
; NumSGPRsForWavesPerEU: 16
; NumVGPRsForWavesPerEU: 5
; Occupancy: 16
; WaveLimiterHint : 0
; COMPUTE_PGM_RSRC2:SCRATCH_EN: 0
; COMPUTE_PGM_RSRC2:USER_SGPR: 15
; COMPUTE_PGM_RSRC2:TRAP_HANDLER: 0
; COMPUTE_PGM_RSRC2:TGID_X_EN: 1
; COMPUTE_PGM_RSRC2:TGID_Y_EN: 0
; COMPUTE_PGM_RSRC2:TGID_Z_EN: 0
; COMPUTE_PGM_RSRC2:TIDIG_COMP_CNT: 0
	.section	.text._ZN5aiter55rope_hadamard_rotate_activation_fp4quant_inplace_kernelItLi256ELb1ELi16EEEvPT_PKS1_S4_S4_PKliiiii,"axG",@progbits,_ZN5aiter55rope_hadamard_rotate_activation_fp4quant_inplace_kernelItLi256ELb1ELi16EEEvPT_PKS1_S4_S4_PKliiiii,comdat
	.protected	_ZN5aiter55rope_hadamard_rotate_activation_fp4quant_inplace_kernelItLi256ELb1ELi16EEEvPT_PKS1_S4_S4_PKliiiii ; -- Begin function _ZN5aiter55rope_hadamard_rotate_activation_fp4quant_inplace_kernelItLi256ELb1ELi16EEEvPT_PKS1_S4_S4_PKliiiii
	.globl	_ZN5aiter55rope_hadamard_rotate_activation_fp4quant_inplace_kernelItLi256ELb1ELi16EEEvPT_PKS1_S4_S4_PKliiiii
	.p2align	8
	.type	_ZN5aiter55rope_hadamard_rotate_activation_fp4quant_inplace_kernelItLi256ELb1ELi16EEEvPT_PKS1_S4_S4_PKliiiii,@function
_ZN5aiter55rope_hadamard_rotate_activation_fp4quant_inplace_kernelItLi256ELb1ELi16EEEvPT_PKS1_S4_S4_PKliiiii: ; @_ZN5aiter55rope_hadamard_rotate_activation_fp4quant_inplace_kernelItLi256ELb1ELi16EEEvPT_PKS1_S4_S4_PKliiiii
; %bb.0:
	s_clause 0x2
	s_load_b32 s6, s[0:1], 0x34
	s_load_b32 s8, s[0:1], 0x28
	s_load_b64 s[4:5], s[0:1], 0x0
	s_mov_b32 s0, 0
	s_lshl_b32 s9, s15, 1
	s_mov_b32 s3, s0
	s_mov_b32 s1, s0
	;; [unrolled: 1-line block ×3, first 2 shown]
	s_delay_alu instid0(SALU_CYCLE_1)
	v_dual_mov_b32 v4, s3 :: v_dual_mov_b32 v3, s2
	v_dual_mov_b32 v2, s1 :: v_dual_mov_b32 v1, s0
	v_lshlrev_b32_e32 v0, 5, v0
	s_mov_b32 s7, -1
	s_waitcnt lgkmcnt(0)
	s_mul_hi_i32 s1, s6, s9
	s_mul_i32 s0, s6, s9
	s_sub_i32 s2, s8, s9
	s_lshl_b64 s[0:1], s[0:1], 1
	s_min_i32 s2, s2, 2
	s_add_u32 s4, s4, s0
	s_addc_u32 s0, s5, s1
	s_lshl_b32 s6, s2, 9
	s_and_b32 s5, s0, 0xffff
	s_clause 0x1
	buffer_store_b128 v[1:4], v0, s[4:7], 0 offen
	buffer_store_b128 v[1:4], v0, s[4:7], 16 offen
	s_nop 0
	s_sendmsg sendmsg(MSG_DEALLOC_VGPRS)
	s_endpgm
	.section	.rodata,"a",@progbits
	.p2align	6, 0x0
	.amdhsa_kernel _ZN5aiter55rope_hadamard_rotate_activation_fp4quant_inplace_kernelItLi256ELb1ELi16EEEvPT_PKS1_S4_S4_PKliiiii
		.amdhsa_group_segment_fixed_size 0
		.amdhsa_private_segment_fixed_size 0
		.amdhsa_kernarg_size 60
		.amdhsa_user_sgpr_count 15
		.amdhsa_user_sgpr_dispatch_ptr 0
		.amdhsa_user_sgpr_queue_ptr 0
		.amdhsa_user_sgpr_kernarg_segment_ptr 1
		.amdhsa_user_sgpr_dispatch_id 0
		.amdhsa_user_sgpr_private_segment_size 0
		.amdhsa_wavefront_size32 1
		.amdhsa_uses_dynamic_stack 0
		.amdhsa_enable_private_segment 0
		.amdhsa_system_sgpr_workgroup_id_x 1
		.amdhsa_system_sgpr_workgroup_id_y 0
		.amdhsa_system_sgpr_workgroup_id_z 0
		.amdhsa_system_sgpr_workgroup_info 0
		.amdhsa_system_vgpr_workitem_id 0
		.amdhsa_next_free_vgpr 5
		.amdhsa_next_free_sgpr 16
		.amdhsa_reserve_vcc 0
		.amdhsa_float_round_mode_32 0
		.amdhsa_float_round_mode_16_64 0
		.amdhsa_float_denorm_mode_32 3
		.amdhsa_float_denorm_mode_16_64 3
		.amdhsa_dx10_clamp 1
		.amdhsa_ieee_mode 1
		.amdhsa_fp16_overflow 0
		.amdhsa_workgroup_processor_mode 1
		.amdhsa_memory_ordered 1
		.amdhsa_forward_progress 0
		.amdhsa_shared_vgpr_count 0
		.amdhsa_exception_fp_ieee_invalid_op 0
		.amdhsa_exception_fp_denorm_src 0
		.amdhsa_exception_fp_ieee_div_zero 0
		.amdhsa_exception_fp_ieee_overflow 0
		.amdhsa_exception_fp_ieee_underflow 0
		.amdhsa_exception_fp_ieee_inexact 0
		.amdhsa_exception_int_div_zero 0
	.end_amdhsa_kernel
	.section	.text._ZN5aiter55rope_hadamard_rotate_activation_fp4quant_inplace_kernelItLi256ELb1ELi16EEEvPT_PKS1_S4_S4_PKliiiii,"axG",@progbits,_ZN5aiter55rope_hadamard_rotate_activation_fp4quant_inplace_kernelItLi256ELb1ELi16EEEvPT_PKS1_S4_S4_PKliiiii,comdat
.Lfunc_end20:
	.size	_ZN5aiter55rope_hadamard_rotate_activation_fp4quant_inplace_kernelItLi256ELb1ELi16EEEvPT_PKS1_S4_S4_PKliiiii, .Lfunc_end20-_ZN5aiter55rope_hadamard_rotate_activation_fp4quant_inplace_kernelItLi256ELb1ELi16EEEvPT_PKS1_S4_S4_PKliiiii
                                        ; -- End function
	.section	.AMDGPU.csdata,"",@progbits
; Kernel info:
; codeLenInByte = 152
; NumSgprs: 16
; NumVgprs: 5
; ScratchSize: 0
; MemoryBound: 0
; FloatMode: 240
; IeeeMode: 1
; LDSByteSize: 0 bytes/workgroup (compile time only)
; SGPRBlocks: 1
; VGPRBlocks: 0
; NumSGPRsForWavesPerEU: 16
; NumVGPRsForWavesPerEU: 5
; Occupancy: 16
; WaveLimiterHint : 0
; COMPUTE_PGM_RSRC2:SCRATCH_EN: 0
; COMPUTE_PGM_RSRC2:USER_SGPR: 15
; COMPUTE_PGM_RSRC2:TRAP_HANDLER: 0
; COMPUTE_PGM_RSRC2:TGID_X_EN: 1
; COMPUTE_PGM_RSRC2:TGID_Y_EN: 0
; COMPUTE_PGM_RSRC2:TGID_Z_EN: 0
; COMPUTE_PGM_RSRC2:TIDIG_COMP_CNT: 0
	.section	.text._ZN5aiter55rope_hadamard_rotate_activation_fp4quant_inplace_kernelIDF16_Li512ELb1ELi16EEEvPT_PKS1_S4_S4_PKliiiii,"axG",@progbits,_ZN5aiter55rope_hadamard_rotate_activation_fp4quant_inplace_kernelIDF16_Li512ELb1ELi16EEEvPT_PKS1_S4_S4_PKliiiii,comdat
	.protected	_ZN5aiter55rope_hadamard_rotate_activation_fp4quant_inplace_kernelIDF16_Li512ELb1ELi16EEEvPT_PKS1_S4_S4_PKliiiii ; -- Begin function _ZN5aiter55rope_hadamard_rotate_activation_fp4quant_inplace_kernelIDF16_Li512ELb1ELi16EEEvPT_PKS1_S4_S4_PKliiiii
	.globl	_ZN5aiter55rope_hadamard_rotate_activation_fp4quant_inplace_kernelIDF16_Li512ELb1ELi16EEEvPT_PKS1_S4_S4_PKliiiii
	.p2align	8
	.type	_ZN5aiter55rope_hadamard_rotate_activation_fp4quant_inplace_kernelIDF16_Li512ELb1ELi16EEEvPT_PKS1_S4_S4_PKliiiii,@function
_ZN5aiter55rope_hadamard_rotate_activation_fp4quant_inplace_kernelIDF16_Li512ELb1ELi16EEEvPT_PKS1_S4_S4_PKliiiii: ; @_ZN5aiter55rope_hadamard_rotate_activation_fp4quant_inplace_kernelIDF16_Li512ELb1ELi16EEEvPT_PKS1_S4_S4_PKliiiii
; %bb.0:
	s_clause 0x2
	s_load_b32 s6, s[0:1], 0x34
	s_load_b32 s8, s[0:1], 0x28
	s_load_b64 s[4:5], s[0:1], 0x0
	s_mov_b32 s0, 0
	v_lshlrev_b32_e32 v0, 5, v0
	s_mov_b32 s3, s0
	s_mov_b32 s1, s0
	s_mov_b32 s2, s0
	s_delay_alu instid0(SALU_CYCLE_1)
	v_dual_mov_b32 v4, s3 :: v_dual_mov_b32 v3, s2
	v_dual_mov_b32 v2, s1 :: v_dual_mov_b32 v1, s0
	s_mov_b32 s7, -1
	s_waitcnt lgkmcnt(0)
	s_mul_hi_i32 s1, s6, s15
	s_mul_i32 s0, s6, s15
	s_sub_i32 s2, s8, s15
	s_lshl_b64 s[0:1], s[0:1], 1
	s_min_i32 s2, s2, 1
	s_add_u32 s4, s4, s0
	s_addc_u32 s0, s5, s1
	s_lshl_b32 s6, s2, 10
	s_and_b32 s5, s0, 0xffff
	s_clause 0x1
	buffer_store_b128 v[1:4], v0, s[4:7], 0 offen
	buffer_store_b128 v[1:4], v0, s[4:7], 16 offen
	s_nop 0
	s_sendmsg sendmsg(MSG_DEALLOC_VGPRS)
	s_endpgm
	.section	.rodata,"a",@progbits
	.p2align	6, 0x0
	.amdhsa_kernel _ZN5aiter55rope_hadamard_rotate_activation_fp4quant_inplace_kernelIDF16_Li512ELb1ELi16EEEvPT_PKS1_S4_S4_PKliiiii
		.amdhsa_group_segment_fixed_size 0
		.amdhsa_private_segment_fixed_size 0
		.amdhsa_kernarg_size 60
		.amdhsa_user_sgpr_count 15
		.amdhsa_user_sgpr_dispatch_ptr 0
		.amdhsa_user_sgpr_queue_ptr 0
		.amdhsa_user_sgpr_kernarg_segment_ptr 1
		.amdhsa_user_sgpr_dispatch_id 0
		.amdhsa_user_sgpr_private_segment_size 0
		.amdhsa_wavefront_size32 1
		.amdhsa_uses_dynamic_stack 0
		.amdhsa_enable_private_segment 0
		.amdhsa_system_sgpr_workgroup_id_x 1
		.amdhsa_system_sgpr_workgroup_id_y 0
		.amdhsa_system_sgpr_workgroup_id_z 0
		.amdhsa_system_sgpr_workgroup_info 0
		.amdhsa_system_vgpr_workitem_id 0
		.amdhsa_next_free_vgpr 5
		.amdhsa_next_free_sgpr 16
		.amdhsa_reserve_vcc 0
		.amdhsa_float_round_mode_32 0
		.amdhsa_float_round_mode_16_64 0
		.amdhsa_float_denorm_mode_32 3
		.amdhsa_float_denorm_mode_16_64 3
		.amdhsa_dx10_clamp 1
		.amdhsa_ieee_mode 1
		.amdhsa_fp16_overflow 0
		.amdhsa_workgroup_processor_mode 1
		.amdhsa_memory_ordered 1
		.amdhsa_forward_progress 0
		.amdhsa_shared_vgpr_count 0
		.amdhsa_exception_fp_ieee_invalid_op 0
		.amdhsa_exception_fp_denorm_src 0
		.amdhsa_exception_fp_ieee_div_zero 0
		.amdhsa_exception_fp_ieee_overflow 0
		.amdhsa_exception_fp_ieee_underflow 0
		.amdhsa_exception_fp_ieee_inexact 0
		.amdhsa_exception_int_div_zero 0
	.end_amdhsa_kernel
	.section	.text._ZN5aiter55rope_hadamard_rotate_activation_fp4quant_inplace_kernelIDF16_Li512ELb1ELi16EEEvPT_PKS1_S4_S4_PKliiiii,"axG",@progbits,_ZN5aiter55rope_hadamard_rotate_activation_fp4quant_inplace_kernelIDF16_Li512ELb1ELi16EEEvPT_PKS1_S4_S4_PKliiiii,comdat
.Lfunc_end21:
	.size	_ZN5aiter55rope_hadamard_rotate_activation_fp4quant_inplace_kernelIDF16_Li512ELb1ELi16EEEvPT_PKS1_S4_S4_PKliiiii, .Lfunc_end21-_ZN5aiter55rope_hadamard_rotate_activation_fp4quant_inplace_kernelIDF16_Li512ELb1ELi16EEEvPT_PKS1_S4_S4_PKliiiii
                                        ; -- End function
	.section	.AMDGPU.csdata,"",@progbits
; Kernel info:
; codeLenInByte = 148
; NumSgprs: 16
; NumVgprs: 5
; ScratchSize: 0
; MemoryBound: 0
; FloatMode: 240
; IeeeMode: 1
; LDSByteSize: 0 bytes/workgroup (compile time only)
; SGPRBlocks: 1
; VGPRBlocks: 0
; NumSGPRsForWavesPerEU: 16
; NumVGPRsForWavesPerEU: 5
; Occupancy: 16
; WaveLimiterHint : 0
; COMPUTE_PGM_RSRC2:SCRATCH_EN: 0
; COMPUTE_PGM_RSRC2:USER_SGPR: 15
; COMPUTE_PGM_RSRC2:TRAP_HANDLER: 0
; COMPUTE_PGM_RSRC2:TGID_X_EN: 1
; COMPUTE_PGM_RSRC2:TGID_Y_EN: 0
; COMPUTE_PGM_RSRC2:TGID_Z_EN: 0
; COMPUTE_PGM_RSRC2:TIDIG_COMP_CNT: 0
	.section	.text._ZN5aiter55rope_hadamard_rotate_activation_fp4quant_inplace_kernelItLi512ELb1ELi16EEEvPT_PKS1_S4_S4_PKliiiii,"axG",@progbits,_ZN5aiter55rope_hadamard_rotate_activation_fp4quant_inplace_kernelItLi512ELb1ELi16EEEvPT_PKS1_S4_S4_PKliiiii,comdat
	.protected	_ZN5aiter55rope_hadamard_rotate_activation_fp4quant_inplace_kernelItLi512ELb1ELi16EEEvPT_PKS1_S4_S4_PKliiiii ; -- Begin function _ZN5aiter55rope_hadamard_rotate_activation_fp4quant_inplace_kernelItLi512ELb1ELi16EEEvPT_PKS1_S4_S4_PKliiiii
	.globl	_ZN5aiter55rope_hadamard_rotate_activation_fp4quant_inplace_kernelItLi512ELb1ELi16EEEvPT_PKS1_S4_S4_PKliiiii
	.p2align	8
	.type	_ZN5aiter55rope_hadamard_rotate_activation_fp4quant_inplace_kernelItLi512ELb1ELi16EEEvPT_PKS1_S4_S4_PKliiiii,@function
_ZN5aiter55rope_hadamard_rotate_activation_fp4quant_inplace_kernelItLi512ELb1ELi16EEEvPT_PKS1_S4_S4_PKliiiii: ; @_ZN5aiter55rope_hadamard_rotate_activation_fp4quant_inplace_kernelItLi512ELb1ELi16EEEvPT_PKS1_S4_S4_PKliiiii
; %bb.0:
	s_clause 0x2
	s_load_b32 s6, s[0:1], 0x34
	s_load_b32 s8, s[0:1], 0x28
	s_load_b64 s[4:5], s[0:1], 0x0
	s_mov_b32 s0, 0
	v_lshlrev_b32_e32 v0, 5, v0
	s_mov_b32 s3, s0
	s_mov_b32 s1, s0
	;; [unrolled: 1-line block ×3, first 2 shown]
	s_delay_alu instid0(SALU_CYCLE_1)
	v_dual_mov_b32 v4, s3 :: v_dual_mov_b32 v3, s2
	v_dual_mov_b32 v2, s1 :: v_dual_mov_b32 v1, s0
	s_mov_b32 s7, -1
	s_waitcnt lgkmcnt(0)
	s_mul_hi_i32 s1, s6, s15
	s_mul_i32 s0, s6, s15
	s_sub_i32 s2, s8, s15
	s_lshl_b64 s[0:1], s[0:1], 1
	s_min_i32 s2, s2, 1
	s_add_u32 s4, s4, s0
	s_addc_u32 s0, s5, s1
	s_lshl_b32 s6, s2, 10
	s_and_b32 s5, s0, 0xffff
	s_clause 0x1
	buffer_store_b128 v[1:4], v0, s[4:7], 0 offen
	buffer_store_b128 v[1:4], v0, s[4:7], 16 offen
	s_nop 0
	s_sendmsg sendmsg(MSG_DEALLOC_VGPRS)
	s_endpgm
	.section	.rodata,"a",@progbits
	.p2align	6, 0x0
	.amdhsa_kernel _ZN5aiter55rope_hadamard_rotate_activation_fp4quant_inplace_kernelItLi512ELb1ELi16EEEvPT_PKS1_S4_S4_PKliiiii
		.amdhsa_group_segment_fixed_size 0
		.amdhsa_private_segment_fixed_size 0
		.amdhsa_kernarg_size 60
		.amdhsa_user_sgpr_count 15
		.amdhsa_user_sgpr_dispatch_ptr 0
		.amdhsa_user_sgpr_queue_ptr 0
		.amdhsa_user_sgpr_kernarg_segment_ptr 1
		.amdhsa_user_sgpr_dispatch_id 0
		.amdhsa_user_sgpr_private_segment_size 0
		.amdhsa_wavefront_size32 1
		.amdhsa_uses_dynamic_stack 0
		.amdhsa_enable_private_segment 0
		.amdhsa_system_sgpr_workgroup_id_x 1
		.amdhsa_system_sgpr_workgroup_id_y 0
		.amdhsa_system_sgpr_workgroup_id_z 0
		.amdhsa_system_sgpr_workgroup_info 0
		.amdhsa_system_vgpr_workitem_id 0
		.amdhsa_next_free_vgpr 5
		.amdhsa_next_free_sgpr 16
		.amdhsa_reserve_vcc 0
		.amdhsa_float_round_mode_32 0
		.amdhsa_float_round_mode_16_64 0
		.amdhsa_float_denorm_mode_32 3
		.amdhsa_float_denorm_mode_16_64 3
		.amdhsa_dx10_clamp 1
		.amdhsa_ieee_mode 1
		.amdhsa_fp16_overflow 0
		.amdhsa_workgroup_processor_mode 1
		.amdhsa_memory_ordered 1
		.amdhsa_forward_progress 0
		.amdhsa_shared_vgpr_count 0
		.amdhsa_exception_fp_ieee_invalid_op 0
		.amdhsa_exception_fp_denorm_src 0
		.amdhsa_exception_fp_ieee_div_zero 0
		.amdhsa_exception_fp_ieee_overflow 0
		.amdhsa_exception_fp_ieee_underflow 0
		.amdhsa_exception_fp_ieee_inexact 0
		.amdhsa_exception_int_div_zero 0
	.end_amdhsa_kernel
	.section	.text._ZN5aiter55rope_hadamard_rotate_activation_fp4quant_inplace_kernelItLi512ELb1ELi16EEEvPT_PKS1_S4_S4_PKliiiii,"axG",@progbits,_ZN5aiter55rope_hadamard_rotate_activation_fp4quant_inplace_kernelItLi512ELb1ELi16EEEvPT_PKS1_S4_S4_PKliiiii,comdat
.Lfunc_end22:
	.size	_ZN5aiter55rope_hadamard_rotate_activation_fp4quant_inplace_kernelItLi512ELb1ELi16EEEvPT_PKS1_S4_S4_PKliiiii, .Lfunc_end22-_ZN5aiter55rope_hadamard_rotate_activation_fp4quant_inplace_kernelItLi512ELb1ELi16EEEvPT_PKS1_S4_S4_PKliiiii
                                        ; -- End function
	.section	.AMDGPU.csdata,"",@progbits
; Kernel info:
; codeLenInByte = 148
; NumSgprs: 16
; NumVgprs: 5
; ScratchSize: 0
; MemoryBound: 0
; FloatMode: 240
; IeeeMode: 1
; LDSByteSize: 0 bytes/workgroup (compile time only)
; SGPRBlocks: 1
; VGPRBlocks: 0
; NumSGPRsForWavesPerEU: 16
; NumVGPRsForWavesPerEU: 5
; Occupancy: 16
; WaveLimiterHint : 0
; COMPUTE_PGM_RSRC2:SCRATCH_EN: 0
; COMPUTE_PGM_RSRC2:USER_SGPR: 15
; COMPUTE_PGM_RSRC2:TRAP_HANDLER: 0
; COMPUTE_PGM_RSRC2:TGID_X_EN: 1
; COMPUTE_PGM_RSRC2:TGID_Y_EN: 0
; COMPUTE_PGM_RSRC2:TGID_Z_EN: 0
; COMPUTE_PGM_RSRC2:TIDIG_COMP_CNT: 0
	.section	.text._ZN5aiter55rope_hadamard_rotate_activation_fp4quant_inplace_kernelIDF16_Li1024ELb1ELi32EEEvPT_PKS1_S4_S4_PKliiiii,"axG",@progbits,_ZN5aiter55rope_hadamard_rotate_activation_fp4quant_inplace_kernelIDF16_Li1024ELb1ELi32EEEvPT_PKS1_S4_S4_PKliiiii,comdat
	.protected	_ZN5aiter55rope_hadamard_rotate_activation_fp4quant_inplace_kernelIDF16_Li1024ELb1ELi32EEEvPT_PKS1_S4_S4_PKliiiii ; -- Begin function _ZN5aiter55rope_hadamard_rotate_activation_fp4quant_inplace_kernelIDF16_Li1024ELb1ELi32EEEvPT_PKS1_S4_S4_PKliiiii
	.globl	_ZN5aiter55rope_hadamard_rotate_activation_fp4quant_inplace_kernelIDF16_Li1024ELb1ELi32EEEvPT_PKS1_S4_S4_PKliiiii
	.p2align	8
	.type	_ZN5aiter55rope_hadamard_rotate_activation_fp4quant_inplace_kernelIDF16_Li1024ELb1ELi32EEEvPT_PKS1_S4_S4_PKliiiii,@function
_ZN5aiter55rope_hadamard_rotate_activation_fp4quant_inplace_kernelIDF16_Li1024ELb1ELi32EEEvPT_PKS1_S4_S4_PKliiiii: ; @_ZN5aiter55rope_hadamard_rotate_activation_fp4quant_inplace_kernelIDF16_Li1024ELb1ELi32EEEvPT_PKS1_S4_S4_PKliiiii
; %bb.0:
	s_clause 0x2
	s_load_b32 s6, s[0:1], 0x34
	s_load_b32 s8, s[0:1], 0x28
	s_load_b64 s[4:5], s[0:1], 0x0
	s_mov_b32 s0, 0
	v_lshlrev_b32_e32 v0, 6, v0
	s_mov_b32 s3, s0
	s_mov_b32 s1, s0
	;; [unrolled: 1-line block ×3, first 2 shown]
	s_delay_alu instid0(SALU_CYCLE_1)
	v_dual_mov_b32 v4, s3 :: v_dual_mov_b32 v3, s2
	v_dual_mov_b32 v2, s1 :: v_dual_mov_b32 v1, s0
	s_mov_b32 s7, -1
	s_waitcnt lgkmcnt(0)
	s_mul_hi_i32 s1, s6, s15
	s_mul_i32 s0, s6, s15
	s_sub_i32 s2, s8, s15
	s_lshl_b64 s[0:1], s[0:1], 1
	s_min_i32 s2, s2, 1
	s_add_u32 s4, s4, s0
	s_addc_u32 s0, s5, s1
	s_lshl_b32 s6, s2, 11
	s_and_b32 s5, s0, 0xffff
	s_clause 0x3
	buffer_store_b128 v[1:4], v0, s[4:7], 0 offen
	buffer_store_b128 v[1:4], v0, s[4:7], 16 offen
	;; [unrolled: 1-line block ×4, first 2 shown]
	s_nop 0
	s_sendmsg sendmsg(MSG_DEALLOC_VGPRS)
	s_endpgm
	.section	.rodata,"a",@progbits
	.p2align	6, 0x0
	.amdhsa_kernel _ZN5aiter55rope_hadamard_rotate_activation_fp4quant_inplace_kernelIDF16_Li1024ELb1ELi32EEEvPT_PKS1_S4_S4_PKliiiii
		.amdhsa_group_segment_fixed_size 0
		.amdhsa_private_segment_fixed_size 0
		.amdhsa_kernarg_size 60
		.amdhsa_user_sgpr_count 15
		.amdhsa_user_sgpr_dispatch_ptr 0
		.amdhsa_user_sgpr_queue_ptr 0
		.amdhsa_user_sgpr_kernarg_segment_ptr 1
		.amdhsa_user_sgpr_dispatch_id 0
		.amdhsa_user_sgpr_private_segment_size 0
		.amdhsa_wavefront_size32 1
		.amdhsa_uses_dynamic_stack 0
		.amdhsa_enable_private_segment 0
		.amdhsa_system_sgpr_workgroup_id_x 1
		.amdhsa_system_sgpr_workgroup_id_y 0
		.amdhsa_system_sgpr_workgroup_id_z 0
		.amdhsa_system_sgpr_workgroup_info 0
		.amdhsa_system_vgpr_workitem_id 0
		.amdhsa_next_free_vgpr 5
		.amdhsa_next_free_sgpr 16
		.amdhsa_reserve_vcc 0
		.amdhsa_float_round_mode_32 0
		.amdhsa_float_round_mode_16_64 0
		.amdhsa_float_denorm_mode_32 3
		.amdhsa_float_denorm_mode_16_64 3
		.amdhsa_dx10_clamp 1
		.amdhsa_ieee_mode 1
		.amdhsa_fp16_overflow 0
		.amdhsa_workgroup_processor_mode 1
		.amdhsa_memory_ordered 1
		.amdhsa_forward_progress 0
		.amdhsa_shared_vgpr_count 0
		.amdhsa_exception_fp_ieee_invalid_op 0
		.amdhsa_exception_fp_denorm_src 0
		.amdhsa_exception_fp_ieee_div_zero 0
		.amdhsa_exception_fp_ieee_overflow 0
		.amdhsa_exception_fp_ieee_underflow 0
		.amdhsa_exception_fp_ieee_inexact 0
		.amdhsa_exception_int_div_zero 0
	.end_amdhsa_kernel
	.section	.text._ZN5aiter55rope_hadamard_rotate_activation_fp4quant_inplace_kernelIDF16_Li1024ELb1ELi32EEEvPT_PKS1_S4_S4_PKliiiii,"axG",@progbits,_ZN5aiter55rope_hadamard_rotate_activation_fp4quant_inplace_kernelIDF16_Li1024ELb1ELi32EEEvPT_PKS1_S4_S4_PKliiiii,comdat
.Lfunc_end23:
	.size	_ZN5aiter55rope_hadamard_rotate_activation_fp4quant_inplace_kernelIDF16_Li1024ELb1ELi32EEEvPT_PKS1_S4_S4_PKliiiii, .Lfunc_end23-_ZN5aiter55rope_hadamard_rotate_activation_fp4quant_inplace_kernelIDF16_Li1024ELb1ELi32EEEvPT_PKS1_S4_S4_PKliiiii
                                        ; -- End function
	.section	.AMDGPU.csdata,"",@progbits
; Kernel info:
; codeLenInByte = 164
; NumSgprs: 16
; NumVgprs: 5
; ScratchSize: 0
; MemoryBound: 0
; FloatMode: 240
; IeeeMode: 1
; LDSByteSize: 0 bytes/workgroup (compile time only)
; SGPRBlocks: 1
; VGPRBlocks: 0
; NumSGPRsForWavesPerEU: 16
; NumVGPRsForWavesPerEU: 5
; Occupancy: 16
; WaveLimiterHint : 0
; COMPUTE_PGM_RSRC2:SCRATCH_EN: 0
; COMPUTE_PGM_RSRC2:USER_SGPR: 15
; COMPUTE_PGM_RSRC2:TRAP_HANDLER: 0
; COMPUTE_PGM_RSRC2:TGID_X_EN: 1
; COMPUTE_PGM_RSRC2:TGID_Y_EN: 0
; COMPUTE_PGM_RSRC2:TGID_Z_EN: 0
; COMPUTE_PGM_RSRC2:TIDIG_COMP_CNT: 0
	.section	.text._ZN5aiter55rope_hadamard_rotate_activation_fp4quant_inplace_kernelItLi1024ELb1ELi32EEEvPT_PKS1_S4_S4_PKliiiii,"axG",@progbits,_ZN5aiter55rope_hadamard_rotate_activation_fp4quant_inplace_kernelItLi1024ELb1ELi32EEEvPT_PKS1_S4_S4_PKliiiii,comdat
	.protected	_ZN5aiter55rope_hadamard_rotate_activation_fp4quant_inplace_kernelItLi1024ELb1ELi32EEEvPT_PKS1_S4_S4_PKliiiii ; -- Begin function _ZN5aiter55rope_hadamard_rotate_activation_fp4quant_inplace_kernelItLi1024ELb1ELi32EEEvPT_PKS1_S4_S4_PKliiiii
	.globl	_ZN5aiter55rope_hadamard_rotate_activation_fp4quant_inplace_kernelItLi1024ELb1ELi32EEEvPT_PKS1_S4_S4_PKliiiii
	.p2align	8
	.type	_ZN5aiter55rope_hadamard_rotate_activation_fp4quant_inplace_kernelItLi1024ELb1ELi32EEEvPT_PKS1_S4_S4_PKliiiii,@function
_ZN5aiter55rope_hadamard_rotate_activation_fp4quant_inplace_kernelItLi1024ELb1ELi32EEEvPT_PKS1_S4_S4_PKliiiii: ; @_ZN5aiter55rope_hadamard_rotate_activation_fp4quant_inplace_kernelItLi1024ELb1ELi32EEEvPT_PKS1_S4_S4_PKliiiii
; %bb.0:
	s_clause 0x2
	s_load_b32 s6, s[0:1], 0x34
	s_load_b32 s8, s[0:1], 0x28
	s_load_b64 s[4:5], s[0:1], 0x0
	s_mov_b32 s0, 0
	v_lshlrev_b32_e32 v0, 6, v0
	s_mov_b32 s3, s0
	s_mov_b32 s1, s0
	;; [unrolled: 1-line block ×3, first 2 shown]
	s_delay_alu instid0(SALU_CYCLE_1)
	v_dual_mov_b32 v4, s3 :: v_dual_mov_b32 v3, s2
	v_dual_mov_b32 v2, s1 :: v_dual_mov_b32 v1, s0
	s_mov_b32 s7, -1
	s_waitcnt lgkmcnt(0)
	s_mul_hi_i32 s1, s6, s15
	s_mul_i32 s0, s6, s15
	s_sub_i32 s2, s8, s15
	s_lshl_b64 s[0:1], s[0:1], 1
	s_min_i32 s2, s2, 1
	s_add_u32 s4, s4, s0
	s_addc_u32 s0, s5, s1
	s_lshl_b32 s6, s2, 11
	s_and_b32 s5, s0, 0xffff
	s_clause 0x3
	buffer_store_b128 v[1:4], v0, s[4:7], 0 offen
	buffer_store_b128 v[1:4], v0, s[4:7], 16 offen
	;; [unrolled: 1-line block ×4, first 2 shown]
	s_nop 0
	s_sendmsg sendmsg(MSG_DEALLOC_VGPRS)
	s_endpgm
	.section	.rodata,"a",@progbits
	.p2align	6, 0x0
	.amdhsa_kernel _ZN5aiter55rope_hadamard_rotate_activation_fp4quant_inplace_kernelItLi1024ELb1ELi32EEEvPT_PKS1_S4_S4_PKliiiii
		.amdhsa_group_segment_fixed_size 0
		.amdhsa_private_segment_fixed_size 0
		.amdhsa_kernarg_size 60
		.amdhsa_user_sgpr_count 15
		.amdhsa_user_sgpr_dispatch_ptr 0
		.amdhsa_user_sgpr_queue_ptr 0
		.amdhsa_user_sgpr_kernarg_segment_ptr 1
		.amdhsa_user_sgpr_dispatch_id 0
		.amdhsa_user_sgpr_private_segment_size 0
		.amdhsa_wavefront_size32 1
		.amdhsa_uses_dynamic_stack 0
		.amdhsa_enable_private_segment 0
		.amdhsa_system_sgpr_workgroup_id_x 1
		.amdhsa_system_sgpr_workgroup_id_y 0
		.amdhsa_system_sgpr_workgroup_id_z 0
		.amdhsa_system_sgpr_workgroup_info 0
		.amdhsa_system_vgpr_workitem_id 0
		.amdhsa_next_free_vgpr 5
		.amdhsa_next_free_sgpr 16
		.amdhsa_reserve_vcc 0
		.amdhsa_float_round_mode_32 0
		.amdhsa_float_round_mode_16_64 0
		.amdhsa_float_denorm_mode_32 3
		.amdhsa_float_denorm_mode_16_64 3
		.amdhsa_dx10_clamp 1
		.amdhsa_ieee_mode 1
		.amdhsa_fp16_overflow 0
		.amdhsa_workgroup_processor_mode 1
		.amdhsa_memory_ordered 1
		.amdhsa_forward_progress 0
		.amdhsa_shared_vgpr_count 0
		.amdhsa_exception_fp_ieee_invalid_op 0
		.amdhsa_exception_fp_denorm_src 0
		.amdhsa_exception_fp_ieee_div_zero 0
		.amdhsa_exception_fp_ieee_overflow 0
		.amdhsa_exception_fp_ieee_underflow 0
		.amdhsa_exception_fp_ieee_inexact 0
		.amdhsa_exception_int_div_zero 0
	.end_amdhsa_kernel
	.section	.text._ZN5aiter55rope_hadamard_rotate_activation_fp4quant_inplace_kernelItLi1024ELb1ELi32EEEvPT_PKS1_S4_S4_PKliiiii,"axG",@progbits,_ZN5aiter55rope_hadamard_rotate_activation_fp4quant_inplace_kernelItLi1024ELb1ELi32EEEvPT_PKS1_S4_S4_PKliiiii,comdat
.Lfunc_end24:
	.size	_ZN5aiter55rope_hadamard_rotate_activation_fp4quant_inplace_kernelItLi1024ELb1ELi32EEEvPT_PKS1_S4_S4_PKliiiii, .Lfunc_end24-_ZN5aiter55rope_hadamard_rotate_activation_fp4quant_inplace_kernelItLi1024ELb1ELi32EEEvPT_PKS1_S4_S4_PKliiiii
                                        ; -- End function
	.section	.AMDGPU.csdata,"",@progbits
; Kernel info:
; codeLenInByte = 164
; NumSgprs: 16
; NumVgprs: 5
; ScratchSize: 0
; MemoryBound: 0
; FloatMode: 240
; IeeeMode: 1
; LDSByteSize: 0 bytes/workgroup (compile time only)
; SGPRBlocks: 1
; VGPRBlocks: 0
; NumSGPRsForWavesPerEU: 16
; NumVGPRsForWavesPerEU: 5
; Occupancy: 16
; WaveLimiterHint : 0
; COMPUTE_PGM_RSRC2:SCRATCH_EN: 0
; COMPUTE_PGM_RSRC2:USER_SGPR: 15
; COMPUTE_PGM_RSRC2:TRAP_HANDLER: 0
; COMPUTE_PGM_RSRC2:TGID_X_EN: 1
; COMPUTE_PGM_RSRC2:TGID_Y_EN: 0
; COMPUTE_PGM_RSRC2:TGID_Z_EN: 0
; COMPUTE_PGM_RSRC2:TIDIG_COMP_CNT: 0
	.section	.text._ZN5aiter55rope_hadamard_rotate_activation_fp4quant_inplace_kernelIDF16_Li128ELb0ELi16EEEvPT_PKS1_S4_S4_PKliiiii,"axG",@progbits,_ZN5aiter55rope_hadamard_rotate_activation_fp4quant_inplace_kernelIDF16_Li128ELb0ELi16EEEvPT_PKS1_S4_S4_PKliiiii,comdat
	.protected	_ZN5aiter55rope_hadamard_rotate_activation_fp4quant_inplace_kernelIDF16_Li128ELb0ELi16EEEvPT_PKS1_S4_S4_PKliiiii ; -- Begin function _ZN5aiter55rope_hadamard_rotate_activation_fp4quant_inplace_kernelIDF16_Li128ELb0ELi16EEEvPT_PKS1_S4_S4_PKliiiii
	.globl	_ZN5aiter55rope_hadamard_rotate_activation_fp4quant_inplace_kernelIDF16_Li128ELb0ELi16EEEvPT_PKS1_S4_S4_PKliiiii
	.p2align	8
	.type	_ZN5aiter55rope_hadamard_rotate_activation_fp4quant_inplace_kernelIDF16_Li128ELb0ELi16EEEvPT_PKS1_S4_S4_PKliiiii,@function
_ZN5aiter55rope_hadamard_rotate_activation_fp4quant_inplace_kernelIDF16_Li128ELb0ELi16EEEvPT_PKS1_S4_S4_PKliiiii: ; @_ZN5aiter55rope_hadamard_rotate_activation_fp4quant_inplace_kernelIDF16_Li128ELb0ELi16EEEvPT_PKS1_S4_S4_PKliiiii
; %bb.0:
	s_clause 0x1
	s_load_b128 s[8:11], s[0:1], 0x28
	s_load_b128 s[4:7], s[0:1], 0x0
	s_lshl_b32 s14, s15, 2
	v_lshlrev_b32_e32 v9, 5, v0
	s_mov_b32 s19, -1
	v_lshrrev_b32_e32 v35, 3, v0
	v_lshlrev_b32_e32 v10, 4, v0
                                        ; implicit-def: $vgpr26
                                        ; implicit-def: $vgpr27
                                        ; implicit-def: $vgpr21
                                        ; implicit-def: $vgpr25
                                        ; implicit-def: $vgpr28
                                        ; implicit-def: $vgpr29
                                        ; implicit-def: $vgpr20
                                        ; implicit-def: $vgpr24
                                        ; implicit-def: $vgpr30
                                        ; implicit-def: $vgpr31
                                        ; implicit-def: $vgpr19
                                        ; implicit-def: $vgpr23
                                        ; implicit-def: $vgpr32
                                        ; implicit-def: $vgpr33
                                        ; implicit-def: $vgpr18
                                        ; implicit-def: $vgpr22
	s_delay_alu instid0(VALU_DEP_2) | instskip(NEXT) | instid1(VALU_DEP_1)
	v_lshlrev_b32_e32 v11, 7, v35
	v_sub_nc_u32_e32 v34, v10, v11
	s_waitcnt lgkmcnt(0)
	s_mul_hi_i32 s3, s11, s14
	s_mul_i32 s2, s11, s14
	s_sub_i32 s12, s8, s14
	s_lshl_b64 s[2:3], s[2:3], 1
	s_sub_i32 s13, 0x80, s10
	s_min_i32 s12, s12, 4
	s_add_u32 s16, s6, s2
	s_mul_i32 s6, s12, s11
	s_addc_u32 s7, s7, s3
	s_lshl_b32 s18, s6, 1
	s_and_b32 s17, s7, 0xffff
	s_clause 0x1
	buffer_load_b128 v[5:8], v9, s[16:19], 0 offen
	buffer_load_b128 v[1:4], v9, s[16:19], 16 offen
	v_cmp_le_i32_e32 vcc_lo, s13, v34
	s_waitcnt vmcnt(1)
	v_lshrrev_b32_e32 v17, 16, v5
	v_lshrrev_b32_e32 v16, 16, v6
	;; [unrolled: 1-line block ×4, first 2 shown]
	s_waitcnt vmcnt(0)
	v_lshrrev_b32_e32 v13, 16, v1
	v_lshrrev_b32_e32 v12, 16, v2
	;; [unrolled: 1-line block ×4, first 2 shown]
	s_and_saveexec_b32 s6, vcc_lo
	s_delay_alu instid0(SALU_CYCLE_1)
	s_xor_b32 s6, exec_lo, s6
	s_cbranch_execz .LBB25_2
; %bb.1:
	v_cvt_f32_f16_e32 v17, v17
	v_add_nc_u32_e32 v18, s14, v35
	s_add_i32 s7, s8, -1
	v_cvt_f32_f16_e32 v15, v15
	s_load_b64 s[14:15], s[0:1], 0x20
	v_subrev_nc_u32_e32 v21, s13, v34
	v_cmp_gt_i32_e32 vcc_lo, s8, v18
	v_cvt_f32_f16_e32 v13, v13
	v_cvt_f32_f16_e32 v11, v11
	;; [unrolled: 1-line block ×3, first 2 shown]
	v_lshrrev_b32_e32 v22, 31, v21
	v_cndmask_b32_e32 v18, s7, v18, vcc_lo
	s_ctz_i32_b32 s7, s9
	v_cvt_f32_f16_e32 v14, v14
	v_cvt_f32_f16_e32 v12, v12
	v_cvt_f32_f16_e32 v10, v10
	v_ashrrev_i32_e32 v18, s7, v18
	s_lshr_b32 s7, s10, 31
	s_delay_alu instid0(SALU_CYCLE_1) | instskip(SKIP_1) | instid1(VALU_DEP_1)
	s_add_i32 s7, s10, s7
	s_load_b128 s[8:11], s[0:1], 0x10
	v_ashrrev_i32_e32 v19, 31, v18
	s_ashr_i32 s0, s7, 1
	s_delay_alu instid0(SALU_CYCLE_1) | instskip(NEXT) | instid1(VALU_DEP_1)
	s_ashr_i32 s1, s0, 31
	v_lshlrev_b64 v[18:19], 3, v[18:19]
	s_waitcnt lgkmcnt(0)
	s_delay_alu instid0(VALU_DEP_1) | instskip(NEXT) | instid1(VALU_DEP_2)
	v_add_co_u32 v18, vcc_lo, s14, v18
	v_add_co_ci_u32_e32 v19, vcc_lo, s15, v19, vcc_lo
	global_load_b64 v[18:19], v[18:19], off
	s_waitcnt vmcnt(0)
	v_mul_lo_u32 v23, v19, s0
	v_mul_lo_u32 v24, v18, s1
	v_mad_u64_u32 v[19:20], null, v18, s0, 0
	v_add_nc_u32_e32 v18, v21, v22
	s_delay_alu instid0(VALU_DEP_1) | instskip(NEXT) | instid1(VALU_DEP_3)
	v_ashrrev_i32_e32 v21, 1, v18
	v_add3_u32 v20, v20, v24, v23
	s_delay_alu instid0(VALU_DEP_2) | instskip(NEXT) | instid1(VALU_DEP_2)
	v_ashrrev_i32_e32 v22, 31, v21
	v_lshlrev_b64 v[18:19], 1, v[19:20]
	s_delay_alu instid0(VALU_DEP_2) | instskip(NEXT) | instid1(VALU_DEP_2)
	v_lshlrev_b64 v[20:21], 1, v[21:22]
	v_add_co_u32 v22, vcc_lo, s8, v18
	s_delay_alu instid0(VALU_DEP_3) | instskip(SKIP_2) | instid1(VALU_DEP_4)
	v_add_co_ci_u32_e32 v23, vcc_lo, s9, v19, vcc_lo
	v_add_co_u32 v24, vcc_lo, s10, v18
	v_add_co_ci_u32_e32 v25, vcc_lo, s11, v19, vcc_lo
	v_add_co_u32 v18, vcc_lo, v22, v20
	s_delay_alu instid0(VALU_DEP_4) | instskip(NEXT) | instid1(VALU_DEP_4)
	v_add_co_ci_u32_e32 v19, vcc_lo, v23, v21, vcc_lo
	v_add_co_u32 v20, vcc_lo, v24, v20
	s_delay_alu instid0(VALU_DEP_4)
	v_add_co_ci_u32_e32 v21, vcc_lo, v25, v21, vcc_lo
	global_load_b128 v[33:36], v[18:19], off
	global_load_b128 v[37:40], v[20:21], off
	s_waitcnt vmcnt(1)
	v_cvt_f32_f16_e32 v18, v33
	s_waitcnt vmcnt(0)
	v_cvt_f32_f16_e32 v19, v37
	v_lshrrev_b32_e32 v20, 16, v33
	v_lshrrev_b32_e32 v21, 16, v37
	v_cvt_f32_f16_e32 v22, v34
	v_cvt_f32_f16_e32 v23, v38
	v_lshrrev_b32_e32 v24, 16, v34
	v_lshrrev_b32_e32 v25, 16, v38
	v_cvt_f32_f16_e32 v26, v35
	;; [unrolled: 4-line block ×3, first 2 shown]
	v_cvt_f32_f16_e32 v31, v40
	v_lshrrev_b32_e32 v32, 16, v36
	v_lshrrev_b32_e32 v41, 16, v40
	v_mul_f32_e32 v19, v19, v17
	v_cvt_f32_f16_e32 v20, v20
	v_mul_f32_e32 v17, v18, v17
	v_cvt_f32_f16_e32 v21, v21
	v_mul_f32_e32 v23, v23, v15
	v_mul_f32_e32 v15, v22, v15
	v_cvt_f32_f16_e32 v24, v24
	v_cvt_f32_f16_e32 v25, v25
	v_mul_f32_e32 v27, v27, v13
	v_mul_f32_e32 v13, v26, v13
	v_cvt_f32_f16_e32 v26, v28
	;; [unrolled: 4-line block ×3, first 2 shown]
	v_cvt_f32_f16_e32 v31, v41
	v_fma_mix_f32 v22, v33, v5, -v19 op_sel_hi:[1,1,0]
	v_fma_mix_f32 v18, v37, v5, v17 op_sel_hi:[1,1,0]
	v_mul_f32_e32 v5, v21, v16
	v_mul_f32_e32 v16, v20, v16
	v_fma_mix_f32 v23, v34, v7, -v23 op_sel_hi:[1,1,0]
	v_fma_mix_f32 v19, v38, v7, v15 op_sel_hi:[1,1,0]
	v_mul_f32_e32 v7, v25, v14
	v_mul_f32_e32 v14, v24, v14
	;; [unrolled: 4-line block ×4, first 2 shown]
	v_fma_mix_f32 v33, v33, v6, -v5 op_sel:[1,0,0] op_sel_hi:[1,1,0]
	v_fma_mix_f32 v32, v37, v6, v16 op_sel:[1,0,0] op_sel_hi:[1,1,0]
	v_fma_mix_f32 v31, v34, v8, -v7 op_sel:[1,0,0] op_sel_hi:[1,1,0]
	v_fma_mix_f32 v30, v38, v8, v14 op_sel:[1,0,0] op_sel_hi:[1,1,0]
	;; [unrolled: 2-line block ×4, first 2 shown]
                                        ; implicit-def: $vgpr5_vgpr6_vgpr7_vgpr8
                                        ; implicit-def: $vgpr1_vgpr2_vgpr3_vgpr4
                                        ; implicit-def: $vgpr17
                                        ; implicit-def: $vgpr16
                                        ; implicit-def: $vgpr15
                                        ; implicit-def: $vgpr14
                                        ; implicit-def: $vgpr13
                                        ; implicit-def: $vgpr12
                                        ; implicit-def: $vgpr11
                                        ; implicit-def: $vgpr10
.LBB25_2:
	s_and_not1_saveexec_b32 s0, s6
	s_cbranch_execz .LBB25_4
; %bb.3:
	v_cvt_f32_f16_e32 v18, v17
	v_cvt_f32_f16_e32 v22, v5
	;; [unrolled: 1-line block ×16, first 2 shown]
.LBB25_4:
	s_or_b32 exec_lo, exec_lo, s0
	v_dual_add_f32 v1, v22, v18 :: v_dual_sub_f32 v4, v33, v32
	v_dual_sub_f32 v2, v22, v18 :: v_dual_add_f32 v3, v33, v32
	v_dual_add_f32 v5, v23, v19 :: v_dual_add_f32 v10, v24, v20
	v_dual_sub_f32 v6, v23, v19 :: v_dual_sub_f32 v11, v24, v20
	v_dual_add_f32 v7, v31, v30 :: v_dual_add_f32 v12, v29, v28
	v_dual_sub_f32 v8, v31, v30 :: v_dual_sub_f32 v13, v29, v28
	v_dual_add_f32 v14, v25, v21 :: v_dual_sub_f32 v17, v27, v26
	v_dual_sub_f32 v15, v25, v21 :: v_dual_add_f32 v16, v27, v26
	v_add_f32_e32 v18, v1, v3
	v_sub_f32_e32 v1, v1, v3
	v_add_f32_e32 v3, v2, v4
	v_sub_f32_e32 v2, v2, v4
	;; [unrolled: 2-line block ×16, first 2 shown]
	v_add_f32_e32 v15, v17, v6
	v_dual_sub_f32 v6, v17, v6 :: v_dual_add_f32 v17, v18, v13
	v_dual_sub_f32 v13, v18, v13 :: v_dual_add_f32 v18, v7, v16
	v_sub_f32_e32 v7, v7, v16
	s_delay_alu instid0(VALU_DEP_4)
	v_sub_f32_dpp v19, v15, v15 quad_perm:[1,0,3,2] row_mask:0xf bank_mask:0xf bound_ctrl:1
	v_add_f32_dpp v15, v15, v15 quad_perm:[1,0,3,2] row_mask:0xf bank_mask:0xf bound_ctrl:1
	v_add_f32_e32 v16, v5, v14
	v_dual_sub_f32 v5, v5, v14 :: v_dual_add_f32 v14, v4, v8
	v_sub_f32_e32 v4, v4, v8
	v_sub_f32_dpp v20, v17, v17 quad_perm:[1,0,3,2] row_mask:0xf bank_mask:0xf bound_ctrl:1
	v_add_f32_dpp v17, v17, v17 quad_perm:[1,0,3,2] row_mask:0xf bank_mask:0xf bound_ctrl:1
	v_add_f32_e32 v8, v3, v12
	v_dual_sub_f32 v3, v3, v12 :: v_dual_add_f32 v12, v1, v10
	v_dual_sub_f32 v1, v1, v10 :: v_dual_and_b32 v10, 1, v0
	v_sub_f32_dpp v21, v18, v18 quad_perm:[1,0,3,2] row_mask:0xf bank_mask:0xf bound_ctrl:1
	s_add_u32 s0, s4, s2
	s_addc_u32 s1, s5, s3
	s_mov_b32 s3, 0x3db504f3
	v_cmp_eq_u32_e32 vcc_lo, 0, v10
	v_add_f32_dpp v10, v18, v18 quad_perm:[1,0,3,2] row_mask:0xf bank_mask:0xf bound_ctrl:1
	v_add_f32_e32 v18, v2, v11
	v_sub_f32_e32 v2, v2, v11
	s_lshl_b32 s2, s12, 8
	v_cndmask_b32_e32 v11, v19, v15, vcc_lo
	v_sub_f32_dpp v19, v14, v14 quad_perm:[1,0,3,2] row_mask:0xf bank_mask:0xf bound_ctrl:1
	v_add_f32_dpp v14, v14, v14 quad_perm:[1,0,3,2] row_mask:0xf bank_mask:0xf bound_ctrl:1
	v_dual_cndmask_b32 v10, v21, v10 :: v_dual_cndmask_b32 v15, v20, v17
	v_sub_f32_dpp v17, v16, v16 quad_perm:[1,0,3,2] row_mask:0xf bank_mask:0xf bound_ctrl:1
	v_add_f32_dpp v16, v16, v16 quad_perm:[1,0,3,2] row_mask:0xf bank_mask:0xf bound_ctrl:1
	s_delay_alu instid0(VALU_DEP_4)
	v_cndmask_b32_e32 v14, v19, v14, vcc_lo
	v_sub_f32_dpp v19, v13, v13 quad_perm:[1,0,3,2] row_mask:0xf bank_mask:0xf bound_ctrl:1
	v_add_f32_dpp v13, v13, v13 quad_perm:[1,0,3,2] row_mask:0xf bank_mask:0xf bound_ctrl:1
	v_sub_f32_dpp v20, v8, v8 quad_perm:[1,0,3,2] row_mask:0xf bank_mask:0xf bound_ctrl:1
	v_add_f32_dpp v8, v8, v8 quad_perm:[1,0,3,2] row_mask:0xf bank_mask:0xf bound_ctrl:1
	s_and_b32 s1, s1, 0xffff
	s_delay_alu instid0(VALU_DEP_3)
	v_cndmask_b32_e32 v13, v19, v13, vcc_lo
	v_sub_f32_dpp v21, v12, v12 quad_perm:[1,0,3,2] row_mask:0xf bank_mask:0xf bound_ctrl:1
	v_add_f32_dpp v12, v12, v12 quad_perm:[1,0,3,2] row_mask:0xf bank_mask:0xf bound_ctrl:1
	v_sub_f32_dpp v19, v1, v1 quad_perm:[1,0,3,2] row_mask:0xf bank_mask:0xf bound_ctrl:1
	v_add_f32_dpp v1, v1, v1 quad_perm:[1,0,3,2] row_mask:0xf bank_mask:0xf bound_ctrl:1
	v_cndmask_b32_e32 v16, v17, v16, vcc_lo
	s_delay_alu instid0(VALU_DEP_4) | instskip(SKIP_3) | instid1(VALU_DEP_2)
	v_cndmask_b32_e32 v12, v21, v12, vcc_lo
	v_sub_f32_dpp v21, v5, v5 quad_perm:[1,0,3,2] row_mask:0xf bank_mask:0xf bound_ctrl:1
	v_add_f32_dpp v5, v5, v5 quad_perm:[1,0,3,2] row_mask:0xf bank_mask:0xf bound_ctrl:1
	v_cndmask_b32_e32 v1, v19, v1, vcc_lo
	v_cndmask_b32_e32 v5, v21, v5, vcc_lo
	v_sub_f32_dpp v22, v18, v18 quad_perm:[1,0,3,2] row_mask:0xf bank_mask:0xf bound_ctrl:1
	v_add_f32_dpp v18, v18, v18 quad_perm:[1,0,3,2] row_mask:0xf bank_mask:0xf bound_ctrl:1
	v_and_b32_e32 v21, 2, v0
	s_delay_alu instid0(VALU_DEP_2) | instskip(SKIP_4) | instid1(VALU_DEP_3)
	v_dual_cndmask_b32 v17, v22, v18 :: v_dual_and_b32 v0, 4, v0
	v_sub_f32_dpp v18, v6, v6 quad_perm:[1,0,3,2] row_mask:0xf bank_mask:0xf bound_ctrl:1
	v_add_f32_dpp v6, v6, v6 quad_perm:[1,0,3,2] row_mask:0xf bank_mask:0xf bound_ctrl:1
	v_sub_f32_dpp v22, v4, v4 quad_perm:[1,0,3,2] row_mask:0xf bank_mask:0xf bound_ctrl:1
	v_add_f32_dpp v4, v4, v4 quad_perm:[1,0,3,2] row_mask:0xf bank_mask:0xf bound_ctrl:1
	v_cndmask_b32_e32 v6, v18, v6, vcc_lo
	v_sub_f32_dpp v18, v3, v3 quad_perm:[1,0,3,2] row_mask:0xf bank_mask:0xf bound_ctrl:1
	v_add_f32_dpp v3, v3, v3 quad_perm:[1,0,3,2] row_mask:0xf bank_mask:0xf bound_ctrl:1
	s_delay_alu instid0(VALU_DEP_4) | instskip(SKIP_2) | instid1(VALU_DEP_4)
	v_cndmask_b32_e32 v4, v22, v4, vcc_lo
	v_sub_f32_dpp v22, v11, v11 quad_perm:[2,3,0,1] row_mask:0xf bank_mask:0xf bound_ctrl:1
	v_add_f32_dpp v11, v11, v11 quad_perm:[2,3,0,1] row_mask:0xf bank_mask:0xf bound_ctrl:1
	v_cndmask_b32_e32 v3, v18, v3, vcc_lo
	v_sub_f32_dpp v18, v15, v15 quad_perm:[2,3,0,1] row_mask:0xf bank_mask:0xf bound_ctrl:1
	v_add_f32_dpp v15, v15, v15 quad_perm:[2,3,0,1] row_mask:0xf bank_mask:0xf bound_ctrl:1
	;; [unrolled: 3-line block ×3, first 2 shown]
	v_sub_f32_dpp v19, v10, v10 quad_perm:[2,3,0,1] row_mask:0xf bank_mask:0xf bound_ctrl:1
	v_add_f32_dpp v10, v10, v10 quad_perm:[2,3,0,1] row_mask:0xf bank_mask:0xf bound_ctrl:1
	s_delay_alu instid0(VALU_DEP_3) | instskip(SKIP_2) | instid1(VALU_DEP_1)
	v_cndmask_b32_e32 v7, v20, v7, vcc_lo
	v_sub_f32_dpp v20, v2, v2 quad_perm:[1,0,3,2] row_mask:0xf bank_mask:0xf bound_ctrl:1
	v_add_f32_dpp v2, v2, v2 quad_perm:[1,0,3,2] row_mask:0xf bank_mask:0xf bound_ctrl:1
	v_cndmask_b32_e32 v2, v20, v2, vcc_lo
	v_cmp_eq_u32_e32 vcc_lo, 0, v21
	v_sub_f32_dpp v20, v16, v16 quad_perm:[2,3,0,1] row_mask:0xf bank_mask:0xf bound_ctrl:1
	v_add_f32_dpp v16, v16, v16 quad_perm:[2,3,0,1] row_mask:0xf bank_mask:0xf bound_ctrl:1
	v_cndmask_b32_e32 v11, v22, v11, vcc_lo
	v_sub_f32_dpp v21, v14, v14 quad_perm:[2,3,0,1] row_mask:0xf bank_mask:0xf bound_ctrl:1
	v_add_f32_dpp v14, v14, v14 quad_perm:[2,3,0,1] row_mask:0xf bank_mask:0xf bound_ctrl:1
	v_cndmask_b32_e32 v10, v19, v10, vcc_lo
	v_sub_f32_dpp v19, v17, v17 quad_perm:[2,3,0,1] row_mask:0xf bank_mask:0xf bound_ctrl:1
	v_add_f32_dpp v17, v17, v17 quad_perm:[2,3,0,1] row_mask:0xf bank_mask:0xf bound_ctrl:1
	s_delay_alu instid0(VALU_DEP_4) | instskip(SKIP_2) | instid1(VALU_DEP_4)
	v_dual_cndmask_b32 v15, v18, v15 :: v_dual_cndmask_b32 v14, v21, v14
	v_sub_f32_dpp v21, v13, v13 quad_perm:[2,3,0,1] row_mask:0xf bank_mask:0xf bound_ctrl:1
	v_add_f32_dpp v13, v13, v13 quad_perm:[2,3,0,1] row_mask:0xf bank_mask:0xf bound_ctrl:1
	v_cndmask_b32_e32 v17, v19, v17, vcc_lo
	v_sub_f32_dpp v18, v12, v12 quad_perm:[2,3,0,1] row_mask:0xf bank_mask:0xf bound_ctrl:1
	v_add_f32_dpp v12, v12, v12 quad_perm:[2,3,0,1] row_mask:0xf bank_mask:0xf bound_ctrl:1
	v_sub_f32_dpp v22, v8, v8 quad_perm:[2,3,0,1] row_mask:0xf bank_mask:0xf bound_ctrl:1
	v_cndmask_b32_e32 v13, v21, v13, vcc_lo
	v_sub_f32_dpp v21, v1, v1 quad_perm:[2,3,0,1] row_mask:0xf bank_mask:0xf bound_ctrl:1
	v_add_f32_dpp v1, v1, v1 quad_perm:[2,3,0,1] row_mask:0xf bank_mask:0xf bound_ctrl:1
	v_cndmask_b32_e32 v16, v20, v16, vcc_lo
	v_sub_f32_dpp v20, v6, v6 quad_perm:[2,3,0,1] row_mask:0xf bank_mask:0xf bound_ctrl:1
	v_add_f32_dpp v6, v6, v6 quad_perm:[2,3,0,1] row_mask:0xf bank_mask:0xf bound_ctrl:1
	;; [unrolled: 3-line block ×3, first 2 shown]
	v_add_f32_dpp v8, v8, v8 quad_perm:[2,3,0,1] row_mask:0xf bank_mask:0xf bound_ctrl:1
	v_cndmask_b32_e32 v6, v20, v6, vcc_lo
	v_sub_f32_dpp v20, v3, v3 quad_perm:[2,3,0,1] row_mask:0xf bank_mask:0xf bound_ctrl:1
	v_add_f32_dpp v3, v3, v3 quad_perm:[2,3,0,1] row_mask:0xf bank_mask:0xf bound_ctrl:1
	v_cndmask_b32_e32 v5, v18, v5, vcc_lo
	v_mov_b32_dpp v18, v11 row_shl:4 row_mask:0xf bank_mask:0x5 bound_ctrl:1
	v_cndmask_b32_e32 v1, v21, v1, vcc_lo
	v_mov_b32_dpp v21, v10 row_shl:4 row_mask:0xf bank_mask:0x5 bound_ctrl:1
	v_cndmask_b32_e32 v3, v20, v3, vcc_lo
	v_sub_f32_dpp v19, v4, v4 quad_perm:[2,3,0,1] row_mask:0xf bank_mask:0xf bound_ctrl:1
	v_add_f32_dpp v4, v4, v4 quad_perm:[2,3,0,1] row_mask:0xf bank_mask:0xf bound_ctrl:1
	v_mov_b32_dpp v18, v11 row_shr:4 row_mask:0xf bank_mask:0xa bound_ctrl:1
	v_cndmask_b32_e32 v8, v22, v8, vcc_lo
	v_sub_f32_dpp v22, v7, v7 quad_perm:[2,3,0,1] row_mask:0xf bank_mask:0xf bound_ctrl:1
	v_add_f32_dpp v7, v7, v7 quad_perm:[2,3,0,1] row_mask:0xf bank_mask:0xf bound_ctrl:1
	v_cndmask_b32_e32 v4, v19, v4, vcc_lo
	v_mov_b32_dpp v20, v15 row_shl:4 row_mask:0xf bank_mask:0x5 bound_ctrl:1
	v_mov_b32_dpp v21, v10 row_shr:4 row_mask:0xf bank_mask:0xa bound_ctrl:1
	s_delay_alu instid0(VALU_DEP_4) | instskip(SKIP_3) | instid1(VALU_DEP_2)
	v_cndmask_b32_e32 v7, v22, v7, vcc_lo
	v_sub_f32_dpp v19, v2, v2 quad_perm:[2,3,0,1] row_mask:0xf bank_mask:0xf bound_ctrl:1
	v_add_f32_dpp v2, v2, v2 quad_perm:[2,3,0,1] row_mask:0xf bank_mask:0xf bound_ctrl:1
	v_mov_b32_dpp v20, v15 row_shr:4 row_mask:0xf bank_mask:0xa bound_ctrl:1
	v_cndmask_b32_e32 v2, v19, v2, vcc_lo
	v_cmp_eq_u32_e32 vcc_lo, 0, v0
	v_dual_sub_f32 v22, v18, v11 :: v_dual_add_f32 v11, v11, v18
	v_mov_b32_dpp v18, v16 row_shl:4 row_mask:0xf bank_mask:0x5 bound_ctrl:1
	v_dual_sub_f32 v19, v21, v10 :: v_dual_add_f32 v10, v10, v21
	v_mov_b32_dpp v21, v8 row_shl:4 row_mask:0xf bank_mask:0x5 bound_ctrl:1
	s_delay_alu instid0(VALU_DEP_4)
	v_cndmask_b32_e32 v0, v22, v11, vcc_lo
	v_sub_f32_e32 v11, v20, v15
	v_add_f32_e32 v15, v15, v20
	v_mov_b32_dpp v20, v14 row_shl:4 row_mask:0xf bank_mask:0x5 bound_ctrl:1
	v_mov_b32_dpp v18, v16 row_shr:4 row_mask:0xf bank_mask:0xa bound_ctrl:1
	v_mov_b32_dpp v21, v8 row_shr:4 row_mask:0xf bank_mask:0xa bound_ctrl:1
	s_delay_alu instid0(VALU_DEP_4) | instskip(NEXT) | instid1(VALU_DEP_4)
	v_cndmask_b32_e32 v11, v11, v15, vcc_lo
	v_mov_b32_dpp v20, v14 row_shr:4 row_mask:0xf bank_mask:0xa bound_ctrl:1
	s_delay_alu instid0(VALU_DEP_4) | instskip(NEXT) | instid1(VALU_DEP_2)
	v_dual_sub_f32 v15, v18, v16 :: v_dual_add_f32 v16, v16, v18
	v_sub_f32_e32 v18, v20, v14
	v_add_f32_e32 v14, v14, v20
	v_sub_f32_e32 v20, v21, v8
	s_delay_alu instid0(VALU_DEP_4) | instskip(SKIP_2) | instid1(VALU_DEP_3)
	v_dual_add_f32 v8, v8, v21 :: v_dual_cndmask_b32 v15, v15, v16
	v_mov_b32_dpp v22, v17 row_shl:4 row_mask:0xf bank_mask:0x5 bound_ctrl:1
	v_mov_b32_dpp v21, v7 row_shl:4 row_mask:0xf bank_mask:0x5 bound_ctrl:1
	v_cndmask_b32_e32 v8, v20, v8, vcc_lo
	v_mov_b32_dpp v20, v13 row_shl:4 row_mask:0xf bank_mask:0x5 bound_ctrl:1
	s_delay_alu instid0(VALU_DEP_4) | instskip(NEXT) | instid1(VALU_DEP_4)
	v_mov_b32_dpp v22, v17 row_shr:4 row_mask:0xf bank_mask:0xa bound_ctrl:1
	v_mov_b32_dpp v21, v7 row_shr:4 row_mask:0xf bank_mask:0xa bound_ctrl:1
	s_delay_alu instid0(VALU_DEP_3) | instskip(SKIP_2) | instid1(VALU_DEP_1)
	v_mov_b32_dpp v20, v13 row_shr:4 row_mask:0xf bank_mask:0xa bound_ctrl:1
	v_cndmask_b32_e32 v10, v19, v10, vcc_lo
	v_mov_b32_dpp v19, v12 row_shl:4 row_mask:0xf bank_mask:0x5 bound_ctrl:1
	v_mov_b32_dpp v19, v12 row_shr:4 row_mask:0xf bank_mask:0xa bound_ctrl:1
	s_delay_alu instid0(VALU_DEP_1) | instskip(SKIP_3) | instid1(VALU_DEP_3)
	v_sub_f32_e32 v16, v19, v12
	v_dual_add_f32 v12, v12, v19 :: v_dual_sub_f32 v19, v22, v17
	v_add_f32_e32 v17, v17, v22
	v_fma_mixlo_f16 v0, v0, s3, 0
	v_cndmask_b32_e32 v12, v16, v12, vcc_lo
	s_delay_alu instid0(VALU_DEP_3)
	v_cndmask_b32_e32 v16, v19, v17, vcc_lo
	v_sub_f32_e32 v19, v20, v13
	v_add_f32_e32 v13, v13, v20
	v_dual_sub_f32 v20, v21, v7 :: v_dual_add_f32 v7, v7, v21
	v_mov_b32_dpp v21, v1 row_shl:4 row_mask:0xf bank_mask:0x5 bound_ctrl:1
	v_fma_mixhi_f16 v0, v11, s3, 0
	s_delay_alu instid0(VALU_DEP_4) | instskip(NEXT) | instid1(VALU_DEP_4)
	v_dual_cndmask_b32 v13, v19, v13 :: v_dual_cndmask_b32 v14, v18, v14
	v_cndmask_b32_e32 v19, v20, v7, vcc_lo
	v_mov_b32_dpp v18, v6 row_shl:4 row_mask:0xf bank_mask:0x5 bound_ctrl:1
	v_mov_b32_dpp v20, v3 row_shl:4 row_mask:0xf bank_mask:0x5 bound_ctrl:1
	v_mov_b32_dpp v21, v1 row_shr:4 row_mask:0xf bank_mask:0xa bound_ctrl:1
	s_delay_alu instid0(VALU_DEP_3) | instskip(NEXT) | instid1(VALU_DEP_3)
	v_mov_b32_dpp v18, v6 row_shr:4 row_mask:0xf bank_mask:0xa bound_ctrl:1
	v_mov_b32_dpp v20, v3 row_shr:4 row_mask:0xf bank_mask:0xa bound_ctrl:1
	s_delay_alu instid0(VALU_DEP_2) | instskip(SKIP_2) | instid1(VALU_DEP_2)
	v_sub_f32_e32 v17, v18, v6
	v_add_f32_e32 v6, v6, v18
	v_mov_b32_dpp v18, v5 row_shl:4 row_mask:0xf bank_mask:0x5 bound_ctrl:1
	v_cndmask_b32_e32 v17, v17, v6, vcc_lo
	s_delay_alu instid0(VALU_DEP_2) | instskip(SKIP_1) | instid1(VALU_DEP_2)
	v_mov_b32_dpp v18, v5 row_shr:4 row_mask:0xf bank_mask:0xa bound_ctrl:1
	v_mov_b32_dpp v6, v4 row_shl:4 row_mask:0xf bank_mask:0x5 bound_ctrl:1
	v_sub_f32_e32 v7, v18, v5
	s_delay_alu instid0(VALU_DEP_2) | instskip(SKIP_2) | instid1(VALU_DEP_3)
	v_mov_b32_dpp v6, v4 row_shr:4 row_mask:0xf bank_mask:0xa bound_ctrl:1
	v_add_f32_e32 v5, v5, v18
	v_mov_b32_dpp v18, v2 row_shl:4 row_mask:0xf bank_mask:0x5 bound_ctrl:1
	v_sub_f32_e32 v22, v6, v4
	v_add_f32_e32 v4, v4, v6
	s_delay_alu instid0(VALU_DEP_3) | instskip(SKIP_3) | instid1(VALU_DEP_4)
	v_mov_b32_dpp v18, v2 row_shr:4 row_mask:0xf bank_mask:0xa bound_ctrl:1
	v_dual_sub_f32 v6, v20, v3 :: v_dual_add_f32 v3, v3, v20
	v_sub_f32_e32 v20, v21, v1
	v_add_f32_e32 v1, v1, v21
	v_sub_f32_e32 v21, v18, v2
	v_add_f32_e32 v2, v2, v18
	v_cndmask_b32_e32 v18, v7, v5, vcc_lo
	s_delay_alu instid0(VALU_DEP_4) | instskip(SKIP_1) | instid1(VALU_DEP_4)
	v_dual_cndmask_b32 v4, v22, v4 :: v_dual_cndmask_b32 v5, v20, v1
	v_cndmask_b32_e32 v22, v6, v3, vcc_lo
	v_cndmask_b32_e32 v20, v21, v2, vcc_lo
	v_fma_mixlo_f16 v3, v12, s3, 0
	v_fma_mixlo_f16 v2, v14, s3, 0
	;; [unrolled: 1-line block ×7, first 2 shown]
	v_fma_mixhi_f16 v3, v16, s3, 0
	v_fma_mixhi_f16 v2, v8, s3, 0
	;; [unrolled: 1-line block ×7, first 2 shown]
	s_mov_b32 s3, -1
	buffer_store_b128 v[0:3], v9, s[0:3], 0 offen
	;;#ASMSTART
	s_nop 0
	;;#ASMEND
	buffer_store_b128 v[4:7], v9, s[0:3], 16 offen
	;;#ASMSTART
	s_nop 0
	;;#ASMEND
	s_nop 0
	s_sendmsg sendmsg(MSG_DEALLOC_VGPRS)
	s_endpgm
	.section	.rodata,"a",@progbits
	.p2align	6, 0x0
	.amdhsa_kernel _ZN5aiter55rope_hadamard_rotate_activation_fp4quant_inplace_kernelIDF16_Li128ELb0ELi16EEEvPT_PKS1_S4_S4_PKliiiii
		.amdhsa_group_segment_fixed_size 0
		.amdhsa_private_segment_fixed_size 0
		.amdhsa_kernarg_size 60
		.amdhsa_user_sgpr_count 15
		.amdhsa_user_sgpr_dispatch_ptr 0
		.amdhsa_user_sgpr_queue_ptr 0
		.amdhsa_user_sgpr_kernarg_segment_ptr 1
		.amdhsa_user_sgpr_dispatch_id 0
		.amdhsa_user_sgpr_private_segment_size 0
		.amdhsa_wavefront_size32 1
		.amdhsa_uses_dynamic_stack 0
		.amdhsa_enable_private_segment 0
		.amdhsa_system_sgpr_workgroup_id_x 1
		.amdhsa_system_sgpr_workgroup_id_y 0
		.amdhsa_system_sgpr_workgroup_id_z 0
		.amdhsa_system_sgpr_workgroup_info 0
		.amdhsa_system_vgpr_workitem_id 0
		.amdhsa_next_free_vgpr 42
		.amdhsa_next_free_sgpr 20
		.amdhsa_reserve_vcc 1
		.amdhsa_float_round_mode_32 0
		.amdhsa_float_round_mode_16_64 0
		.amdhsa_float_denorm_mode_32 3
		.amdhsa_float_denorm_mode_16_64 3
		.amdhsa_dx10_clamp 1
		.amdhsa_ieee_mode 1
		.amdhsa_fp16_overflow 0
		.amdhsa_workgroup_processor_mode 1
		.amdhsa_memory_ordered 1
		.amdhsa_forward_progress 0
		.amdhsa_shared_vgpr_count 0
		.amdhsa_exception_fp_ieee_invalid_op 0
		.amdhsa_exception_fp_denorm_src 0
		.amdhsa_exception_fp_ieee_div_zero 0
		.amdhsa_exception_fp_ieee_overflow 0
		.amdhsa_exception_fp_ieee_underflow 0
		.amdhsa_exception_fp_ieee_inexact 0
		.amdhsa_exception_int_div_zero 0
	.end_amdhsa_kernel
	.section	.text._ZN5aiter55rope_hadamard_rotate_activation_fp4quant_inplace_kernelIDF16_Li128ELb0ELi16EEEvPT_PKS1_S4_S4_PKliiiii,"axG",@progbits,_ZN5aiter55rope_hadamard_rotate_activation_fp4quant_inplace_kernelIDF16_Li128ELb0ELi16EEEvPT_PKS1_S4_S4_PKliiiii,comdat
.Lfunc_end25:
	.size	_ZN5aiter55rope_hadamard_rotate_activation_fp4quant_inplace_kernelIDF16_Li128ELb0ELi16EEEvPT_PKS1_S4_S4_PKliiiii, .Lfunc_end25-_ZN5aiter55rope_hadamard_rotate_activation_fp4quant_inplace_kernelIDF16_Li128ELb0ELi16EEEvPT_PKS1_S4_S4_PKliiiii
                                        ; -- End function
	.section	.AMDGPU.csdata,"",@progbits
; Kernel info:
; codeLenInByte = 2548
; NumSgprs: 22
; NumVgprs: 42
; ScratchSize: 0
; MemoryBound: 0
; FloatMode: 240
; IeeeMode: 1
; LDSByteSize: 0 bytes/workgroup (compile time only)
; SGPRBlocks: 2
; VGPRBlocks: 5
; NumSGPRsForWavesPerEU: 22
; NumVGPRsForWavesPerEU: 42
; Occupancy: 16
; WaveLimiterHint : 1
; COMPUTE_PGM_RSRC2:SCRATCH_EN: 0
; COMPUTE_PGM_RSRC2:USER_SGPR: 15
; COMPUTE_PGM_RSRC2:TRAP_HANDLER: 0
; COMPUTE_PGM_RSRC2:TGID_X_EN: 1
; COMPUTE_PGM_RSRC2:TGID_Y_EN: 0
; COMPUTE_PGM_RSRC2:TGID_Z_EN: 0
; COMPUTE_PGM_RSRC2:TIDIG_COMP_CNT: 0
	.section	.text._ZN5aiter55rope_hadamard_rotate_activation_fp4quant_inplace_kernelItLi128ELb0ELi16EEEvPT_PKS1_S4_S4_PKliiiii,"axG",@progbits,_ZN5aiter55rope_hadamard_rotate_activation_fp4quant_inplace_kernelItLi128ELb0ELi16EEEvPT_PKS1_S4_S4_PKliiiii,comdat
	.protected	_ZN5aiter55rope_hadamard_rotate_activation_fp4quant_inplace_kernelItLi128ELb0ELi16EEEvPT_PKS1_S4_S4_PKliiiii ; -- Begin function _ZN5aiter55rope_hadamard_rotate_activation_fp4quant_inplace_kernelItLi128ELb0ELi16EEEvPT_PKS1_S4_S4_PKliiiii
	.globl	_ZN5aiter55rope_hadamard_rotate_activation_fp4quant_inplace_kernelItLi128ELb0ELi16EEEvPT_PKS1_S4_S4_PKliiiii
	.p2align	8
	.type	_ZN5aiter55rope_hadamard_rotate_activation_fp4quant_inplace_kernelItLi128ELb0ELi16EEEvPT_PKS1_S4_S4_PKliiiii,@function
_ZN5aiter55rope_hadamard_rotate_activation_fp4quant_inplace_kernelItLi128ELb0ELi16EEEvPT_PKS1_S4_S4_PKliiiii: ; @_ZN5aiter55rope_hadamard_rotate_activation_fp4quant_inplace_kernelItLi128ELb0ELi16EEEvPT_PKS1_S4_S4_PKliiiii
; %bb.0:
	s_clause 0x1
	s_load_b128 s[8:11], s[0:1], 0x28
	s_load_b128 s[4:7], s[0:1], 0x0
	s_lshl_b32 s14, s15, 2
	v_lshlrev_b32_e32 v1, 5, v0
	s_mov_b32 s19, -1
	v_lshrrev_b32_e32 v35, 3, v0
	v_lshlrev_b32_e32 v6, 4, v0
                                        ; implicit-def: $vgpr25
                                        ; implicit-def: $vgpr33
                                        ; implicit-def: $vgpr24
                                        ; implicit-def: $vgpr32
                                        ; implicit-def: $vgpr23
                                        ; implicit-def: $vgpr31
                                        ; implicit-def: $vgpr22
                                        ; implicit-def: $vgpr30
                                        ; implicit-def: $vgpr29
                                        ; implicit-def: $vgpr28
                                        ; implicit-def: $vgpr27
                                        ; implicit-def: $vgpr26
	s_delay_alu instid0(VALU_DEP_2) | instskip(NEXT) | instid1(VALU_DEP_1)
	v_lshlrev_b32_e32 v7, 7, v35
	v_sub_nc_u32_e32 v34, v6, v7
	s_waitcnt lgkmcnt(0)
	s_mul_hi_i32 s3, s11, s14
	s_mul_i32 s2, s11, s14
	s_sub_i32 s12, s8, s14
	s_lshl_b64 s[2:3], s[2:3], 1
	s_sub_i32 s13, 0x80, s10
	s_min_i32 s12, s12, 4
	s_add_u32 s16, s6, s2
	s_mul_i32 s6, s12, s11
	s_addc_u32 s7, s7, s3
	s_lshl_b32 s18, s6, 1
	s_and_b32 s17, s7, 0xffff
	s_clause 0x1
	buffer_load_b128 v[2:5], v1, s[16:19], 0 offen
	buffer_load_b128 v[18:21], v1, s[16:19], 16 offen
	v_cmp_le_i32_e32 vcc_lo, s13, v34
	s_waitcnt vmcnt(1)
	v_and_b32_e32 v16, 0xffff, v2
	v_lshrrev_b32_e32 v17, 16, v2
	v_and_b32_e32 v14, 0xffff, v3
	v_lshrrev_b32_e32 v15, 16, v3
	;; [unrolled: 2-line block ×4, first 2 shown]
	s_waitcnt vmcnt(0)
	v_and_b32_e32 v8, 0xffff, v18
	v_lshrrev_b32_e32 v9, 16, v18
	v_and_b32_e32 v6, 0xffff, v19
	v_lshrrev_b32_e32 v7, 16, v19
	;; [unrolled: 2-line block ×4, first 2 shown]
                                        ; implicit-def: $vgpr21
                                        ; implicit-def: $vgpr20
                                        ; implicit-def: $vgpr19
                                        ; implicit-def: $vgpr18
	s_and_saveexec_b32 s6, vcc_lo
	s_delay_alu instid0(SALU_CYCLE_1)
	s_xor_b32 s6, exec_lo, s6
	s_cbranch_execz .LBB26_2
; %bb.1:
	v_cvt_f32_u32_e32 v13, v13
	v_add_nc_u32_e32 v18, s14, v35
	s_add_i32 s7, s8, -1
	v_cvt_f32_u32_e32 v15, v15
	s_load_b64 s[14:15], s[0:1], 0x20
	v_subrev_nc_u32_e32 v21, s13, v34
	v_cmp_gt_i32_e32 vcc_lo, s8, v18
	v_cvt_f32_u32_e32 v17, v17
	v_cvt_f32_u32_e32 v11, v11
	;; [unrolled: 1-line block ×3, first 2 shown]
	v_lshrrev_b32_e32 v22, 31, v21
	v_cndmask_b32_e32 v18, s7, v18, vcc_lo
	s_ctz_i32_b32 s7, s9
	v_cvt_f32_u32_e32 v7, v7
	v_cvt_f32_u32_e32 v16, v16
	;; [unrolled: 1-line block ×3, first 2 shown]
	v_ashrrev_i32_e32 v18, s7, v18
	s_lshr_b32 s7, s10, 31
	v_cvt_f32_u32_e32 v3, v3
	s_add_i32 s7, s10, s7
	s_load_b128 s[8:11], s[0:1], 0x10
	v_ashrrev_i32_e32 v19, 31, v18
	s_ashr_i32 s0, s7, 1
	v_cvt_f32_u32_e32 v14, v14
	s_ashr_i32 s1, s0, 31
	v_cvt_f32_u32_e32 v12, v12
	v_lshlrev_b64 v[18:19], 3, v[18:19]
	v_cvt_f32_u32_e32 v10, v10
	v_cvt_f32_u32_e32 v8, v8
	;; [unrolled: 1-line block ×5, first 2 shown]
	s_waitcnt lgkmcnt(0)
	v_add_co_u32 v18, vcc_lo, s14, v18
	v_add_co_ci_u32_e32 v19, vcc_lo, s15, v19, vcc_lo
	global_load_b64 v[18:19], v[18:19], off
	s_waitcnt vmcnt(0)
	v_mul_lo_u32 v23, v19, s0
	v_mul_lo_u32 v24, v18, s1
	v_mad_u64_u32 v[19:20], null, v18, s0, 0
	v_add_nc_u32_e32 v18, v21, v22
	s_delay_alu instid0(VALU_DEP_1) | instskip(NEXT) | instid1(VALU_DEP_3)
	v_ashrrev_i32_e32 v21, 1, v18
	v_add3_u32 v20, v20, v24, v23
	s_delay_alu instid0(VALU_DEP_2) | instskip(NEXT) | instid1(VALU_DEP_2)
	v_ashrrev_i32_e32 v22, 31, v21
	v_lshlrev_b64 v[18:19], 1, v[19:20]
	s_delay_alu instid0(VALU_DEP_2) | instskip(NEXT) | instid1(VALU_DEP_2)
	v_lshlrev_b64 v[20:21], 1, v[21:22]
	v_add_co_u32 v22, vcc_lo, s8, v18
	s_delay_alu instid0(VALU_DEP_3) | instskip(SKIP_2) | instid1(VALU_DEP_4)
	v_add_co_ci_u32_e32 v23, vcc_lo, s9, v19, vcc_lo
	v_add_co_u32 v24, vcc_lo, s10, v18
	v_add_co_ci_u32_e32 v25, vcc_lo, s11, v19, vcc_lo
	v_add_co_u32 v18, vcc_lo, v22, v20
	s_delay_alu instid0(VALU_DEP_4) | instskip(NEXT) | instid1(VALU_DEP_4)
	v_add_co_ci_u32_e32 v19, vcc_lo, v23, v21, vcc_lo
	v_add_co_u32 v22, vcc_lo, v24, v20
	s_delay_alu instid0(VALU_DEP_4)
	v_add_co_ci_u32_e32 v23, vcc_lo, v25, v21, vcc_lo
	global_load_b128 v[18:21], v[18:19], off
	global_load_b128 v[22:25], v[22:23], off
	s_waitcnt vmcnt(0)
	v_and_b32_e32 v29, 0xffff, v23
	v_lshrrev_b32_e32 v23, 16, v23
	v_and_b32_e32 v31, 0xffff, v24
	v_lshrrev_b32_e32 v24, 16, v24
	s_delay_alu instid0(VALU_DEP_3)
	v_cvt_f32_u32_e32 v37, v23
	v_and_b32_e32 v26, 0xffff, v18
	v_lshrrev_b32_e32 v18, 16, v18
	v_cvt_f32_u32_e32 v31, v31
	v_and_b32_e32 v28, 0xffff, v19
	v_lshrrev_b32_e32 v19, 16, v19
	;; [unrolled: 3-line block ×3, first 2 shown]
	v_cvt_f32_u32_e32 v34, v18
	v_cvt_f32_u32_e32 v36, v19
	v_mul_f32_e32 v18, v26, v17
	v_and_b32_e32 v30, 0xffff, v20
	v_cvt_f32_u32_e32 v27, v27
	v_cvt_f32_u32_e32 v39, v24
	v_and_b32_e32 v32, 0xffff, v21
	v_lshrrev_b32_e32 v21, 16, v21
	v_lshrrev_b32_e32 v20, 16, v20
	v_dual_fmac_f32 v18, v27, v16 :: v_dual_and_b32 v33, 0xffff, v25
	v_lshrrev_b32_e32 v25, 16, v25
	v_cvt_f32_u32_e32 v35, v22
	v_cvt_f32_u32_e32 v28, v28
	;; [unrolled: 1-line block ×3, first 2 shown]
	v_mul_f32_e32 v42, v27, v17
	v_cvt_f32_u32_e32 v29, v29
	v_mul_f32_e32 v21, v36, v11
	v_cvt_f32_u32_e32 v30, v30
	v_cvt_f32_u32_e32 v38, v20
	;; [unrolled: 1-line block ×4, first 2 shown]
	v_mul_f32_e32 v17, v35, v15
	v_mul_f32_e32 v19, v34, v15
	;; [unrolled: 1-line block ×3, first 2 shown]
	v_dual_mul_f32 v20, v28, v13 :: v_dual_mul_f32 v13, v37, v11
	v_mul_f32_e32 v11, v31, v9
	v_dual_mul_f32 v22, v30, v9 :: v_dual_mul_f32 v9, v39, v7
	v_cvt_f32_u32_e32 v32, v32
	v_mul_f32_e32 v23, v38, v7
	v_mul_f32_e32 v7, v33, v5
	v_dual_mul_f32 v25, v40, v3 :: v_dual_fmac_f32 v20, v29, v12
	s_delay_alu instid0(VALU_DEP_4) | instskip(SKIP_2) | instid1(VALU_DEP_3)
	v_dual_mul_f32 v24, v32, v5 :: v_dual_mul_f32 v5, v41, v3
	v_fma_f32 v26, v26, v16, -v42
	v_fma_f32 v27, v34, v14, -v17
	v_dual_fmac_f32 v19, v35, v14 :: v_dual_fmac_f32 v24, v33, v4
	v_fma_f32 v28, v28, v12, -v15
	v_fma_f32 v29, v36, v10, -v13
	v_fmac_f32_e32 v21, v37, v10
	v_fma_f32 v30, v30, v8, -v11
	v_fmac_f32_e32 v22, v31, v8
	;; [unrolled: 2-line block ×3, first 2 shown]
	v_fma_f32 v32, v32, v4, -v7
	v_fma_f32 v33, v40, v2, -v5
	v_fmac_f32_e32 v25, v41, v2
                                        ; implicit-def: $vgpr16
                                        ; implicit-def: $vgpr17
                                        ; implicit-def: $vgpr14
                                        ; implicit-def: $vgpr15
                                        ; implicit-def: $vgpr12
                                        ; implicit-def: $vgpr13
                                        ; implicit-def: $vgpr10
                                        ; implicit-def: $vgpr11
                                        ; implicit-def: $vgpr8
                                        ; implicit-def: $vgpr9
                                        ; implicit-def: $vgpr6
                                        ; implicit-def: $vgpr7
                                        ; implicit-def: $vgpr4
                                        ; implicit-def: $vgpr5
                                        ; implicit-def: $vgpr2
                                        ; implicit-def: $vgpr3
.LBB26_2:
	s_and_not1_saveexec_b32 s0, s6
	s_cbranch_execz .LBB26_4
; %bb.3:
	v_cvt_f32_u32_e32 v26, v16
	v_cvt_f32_u32_e32 v18, v17
	;; [unrolled: 1-line block ×16, first 2 shown]
.LBB26_4:
	s_or_b32 exec_lo, exec_lo, s0
	v_dual_add_f32 v2, v26, v18 :: v_dual_sub_f32 v5, v27, v19
	v_dual_sub_f32 v3, v26, v18 :: v_dual_add_f32 v4, v27, v19
	v_dual_add_f32 v6, v28, v20 :: v_dual_sub_f32 v9, v29, v21
	v_dual_sub_f32 v7, v28, v20 :: v_dual_add_f32 v8, v29, v21
	;; [unrolled: 2-line block ×4, first 2 shown]
	v_add_f32_e32 v18, v2, v4
	v_sub_f32_e32 v2, v2, v4
	v_add_f32_e32 v4, v3, v5
	v_sub_f32_e32 v3, v3, v5
	;; [unrolled: 2-line block ×8, first 2 shown]
	v_add_f32_e32 v17, v18, v5
	v_dual_sub_f32 v5, v18, v5 :: v_dual_add_f32 v18, v4, v8
	v_sub_f32_e32 v4, v4, v8
	v_add_f32_e32 v8, v2, v6
	v_sub_f32_e32 v2, v2, v6
	v_add_f32_e32 v6, v3, v7
	;; [unrolled: 2-line block ×8, first 2 shown]
	v_dual_sub_f32 v13, v18, v13 :: v_dual_add_f32 v18, v8, v16
	v_sub_f32_e32 v8, v8, v16
	v_add_f32_e32 v16, v6, v14
	v_sub_f32_dpp v19, v15, v15 quad_perm:[1,0,3,2] row_mask:0xf bank_mask:0xf bound_ctrl:1
	v_add_f32_dpp v15, v15, v15 quad_perm:[1,0,3,2] row_mask:0xf bank_mask:0xf bound_ctrl:1
	v_sub_f32_e32 v6, v6, v14
	v_add_f32_e32 v14, v5, v9
	v_sub_f32_e32 v5, v5, v9
	v_add_f32_e32 v9, v4, v12
	v_sub_f32_e32 v4, v4, v12
	v_sub_f32_dpp v20, v17, v17 quad_perm:[1,0,3,2] row_mask:0xf bank_mask:0xf bound_ctrl:1
	v_add_f32_dpp v17, v17, v17 quad_perm:[1,0,3,2] row_mask:0xf bank_mask:0xf bound_ctrl:1
	v_add_f32_e32 v12, v2, v10
	v_sub_f32_e32 v2, v2, v10
	v_and_b32_e32 v10, 1, v0
	v_sub_f32_dpp v21, v18, v18 quad_perm:[1,0,3,2] row_mask:0xf bank_mask:0xf bound_ctrl:1
	s_add_u32 s0, s4, s2
	s_addc_u32 s1, s5, s3
	s_lshl_b32 s2, s12, 8
	v_cmp_eq_u32_e32 vcc_lo, 0, v10
	v_add_f32_dpp v10, v18, v18 quad_perm:[1,0,3,2] row_mask:0xf bank_mask:0xf bound_ctrl:1
	v_add_f32_e32 v18, v3, v11
	v_sub_f32_e32 v3, v3, v11
	s_and_b32 s1, s1, 0xffff
	v_cndmask_b32_e32 v11, v19, v15, vcc_lo
	v_cndmask_b32_e32 v15, v20, v17, vcc_lo
	v_sub_f32_dpp v20, v9, v9 quad_perm:[1,0,3,2] row_mask:0xf bank_mask:0xf bound_ctrl:1
	v_add_f32_dpp v9, v9, v9 quad_perm:[1,0,3,2] row_mask:0xf bank_mask:0xf bound_ctrl:1
	v_sub_f32_dpp v17, v16, v16 quad_perm:[1,0,3,2] row_mask:0xf bank_mask:0xf bound_ctrl:1
	v_add_f32_dpp v16, v16, v16 quad_perm:[1,0,3,2] row_mask:0xf bank_mask:0xf bound_ctrl:1
	;; [unrolled: 2-line block ×3, first 2 shown]
	v_cndmask_b32_e32 v9, v20, v9, vcc_lo
	v_sub_f32_dpp v20, v8, v8 quad_perm:[1,0,3,2] row_mask:0xf bank_mask:0xf bound_ctrl:1
	v_add_f32_dpp v8, v8, v8 quad_perm:[1,0,3,2] row_mask:0xf bank_mask:0xf bound_ctrl:1
	v_cndmask_b32_e32 v10, v21, v10, vcc_lo
	v_sub_f32_dpp v21, v12, v12 quad_perm:[1,0,3,2] row_mask:0xf bank_mask:0xf bound_ctrl:1
	v_add_f32_dpp v12, v12, v12 quad_perm:[1,0,3,2] row_mask:0xf bank_mask:0xf bound_ctrl:1
	s_mov_b32 s3, -1
	v_cndmask_b32_e32 v8, v20, v8, vcc_lo
	v_sub_f32_dpp v20, v3, v3 quad_perm:[1,0,3,2] row_mask:0xf bank_mask:0xf bound_ctrl:1
	v_add_f32_dpp v3, v3, v3 quad_perm:[1,0,3,2] row_mask:0xf bank_mask:0xf bound_ctrl:1
	v_dual_cndmask_b32 v16, v17, v16 :: v_dual_cndmask_b32 v17, v22, v18
	v_sub_f32_dpp v18, v7, v7 quad_perm:[1,0,3,2] row_mask:0xf bank_mask:0xf bound_ctrl:1
	v_add_f32_dpp v7, v7, v7 quad_perm:[1,0,3,2] row_mask:0xf bank_mask:0xf bound_ctrl:1
	s_delay_alu instid0(VALU_DEP_4)
	v_cndmask_b32_e32 v3, v20, v3, vcc_lo
	v_sub_f32_dpp v19, v14, v14 quad_perm:[1,0,3,2] row_mask:0xf bank_mask:0xf bound_ctrl:1
	v_add_f32_dpp v14, v14, v14 quad_perm:[1,0,3,2] row_mask:0xf bank_mask:0xf bound_ctrl:1
	v_sub_f32_dpp v22, v5, v5 quad_perm:[1,0,3,2] row_mask:0xf bank_mask:0xf bound_ctrl:1
	v_add_f32_dpp v5, v5, v5 quad_perm:[1,0,3,2] row_mask:0xf bank_mask:0xf bound_ctrl:1
	v_cndmask_b32_e32 v7, v18, v7, vcc_lo
	v_sub_f32_dpp v18, v4, v4 quad_perm:[1,0,3,2] row_mask:0xf bank_mask:0xf bound_ctrl:1
	v_add_f32_dpp v4, v4, v4 quad_perm:[1,0,3,2] row_mask:0xf bank_mask:0xf bound_ctrl:1
	v_sub_f32_dpp v20, v16, v16 quad_perm:[2,3,0,1] row_mask:0xf bank_mask:0xf bound_ctrl:1
	v_cndmask_b32_e32 v5, v22, v5, vcc_lo
	v_sub_f32_dpp v22, v11, v11 quad_perm:[2,3,0,1] row_mask:0xf bank_mask:0xf bound_ctrl:1
	v_add_f32_dpp v11, v11, v11 quad_perm:[2,3,0,1] row_mask:0xf bank_mask:0xf bound_ctrl:1
	v_cndmask_b32_e32 v14, v19, v14, vcc_lo
	v_sub_f32_dpp v19, v13, v13 quad_perm:[1,0,3,2] row_mask:0xf bank_mask:0xf bound_ctrl:1
	v_add_f32_dpp v13, v13, v13 quad_perm:[1,0,3,2] row_mask:0xf bank_mask:0xf bound_ctrl:1
	;; [unrolled: 3-line block ×5, first 2 shown]
	v_add_f32_dpp v16, v16, v16 quad_perm:[2,3,0,1] row_mask:0xf bank_mask:0xf bound_ctrl:1
	v_dual_cndmask_b32 v6, v21, v6 :: v_dual_and_b32 v21, 2, v0
	s_delay_alu instid0(VALU_DEP_3) | instskip(SKIP_2) | instid1(VALU_DEP_4)
	v_cndmask_b32_e32 v2, v19, v2, vcc_lo
	v_sub_f32_dpp v19, v10, v10 quad_perm:[2,3,0,1] row_mask:0xf bank_mask:0xf bound_ctrl:1
	v_add_f32_dpp v10, v10, v10 quad_perm:[2,3,0,1] row_mask:0xf bank_mask:0xf bound_ctrl:1
	v_cmp_eq_u32_e32 vcc_lo, 0, v21
	v_cndmask_b32_e32 v16, v20, v16, vcc_lo
	v_sub_f32_dpp v20, v7, v7 quad_perm:[2,3,0,1] row_mask:0xf bank_mask:0xf bound_ctrl:1
	v_add_f32_dpp v7, v7, v7 quad_perm:[2,3,0,1] row_mask:0xf bank_mask:0xf bound_ctrl:1
	v_cndmask_b32_e32 v15, v18, v15, vcc_lo
	v_sub_f32_dpp v18, v12, v12 quad_perm:[2,3,0,1] row_mask:0xf bank_mask:0xf bound_ctrl:1
	v_add_f32_dpp v12, v12, v12 quad_perm:[2,3,0,1] row_mask:0xf bank_mask:0xf bound_ctrl:1
	v_cndmask_b32_e32 v11, v22, v11, vcc_lo
	v_cndmask_b32_e32 v7, v20, v7, vcc_lo
	v_sub_f32_dpp v20, v4, v4 quad_perm:[2,3,0,1] row_mask:0xf bank_mask:0xf bound_ctrl:1
	v_add_f32_dpp v4, v4, v4 quad_perm:[2,3,0,1] row_mask:0xf bank_mask:0xf bound_ctrl:1
	v_cndmask_b32_e32 v12, v18, v12, vcc_lo
	v_sub_f32_dpp v21, v14, v14 quad_perm:[2,3,0,1] row_mask:0xf bank_mask:0xf bound_ctrl:1
	v_add_f32_dpp v14, v14, v14 quad_perm:[2,3,0,1] row_mask:0xf bank_mask:0xf bound_ctrl:1
	v_sub_f32_dpp v22, v9, v9 quad_perm:[2,3,0,1] row_mask:0xf bank_mask:0xf bound_ctrl:1
	v_cndmask_b32_e32 v4, v20, v4, vcc_lo
	v_mov_b32_dpp v20, v15 row_shl:4 row_mask:0xf bank_mask:0x5 bound_ctrl:1
	v_add_f32_dpp v9, v9, v9 quad_perm:[2,3,0,1] row_mask:0xf bank_mask:0xf bound_ctrl:1
	s_delay_alu instid0(VALU_DEP_2)
	v_mov_b32_dpp v20, v15 row_shr:4 row_mask:0xf bank_mask:0xa bound_ctrl:1
	v_cndmask_b32_e32 v10, v19, v10, vcc_lo
	v_sub_f32_dpp v19, v17, v17 quad_perm:[2,3,0,1] row_mask:0xf bank_mask:0xf bound_ctrl:1
	v_add_f32_dpp v17, v17, v17 quad_perm:[2,3,0,1] row_mask:0xf bank_mask:0xf bound_ctrl:1
	v_cndmask_b32_e32 v9, v22, v9, vcc_lo
	v_sub_f32_dpp v22, v8, v8 quad_perm:[2,3,0,1] row_mask:0xf bank_mask:0xf bound_ctrl:1
	v_add_f32_dpp v8, v8, v8 quad_perm:[2,3,0,1] row_mask:0xf bank_mask:0xf bound_ctrl:1
	s_delay_alu instid0(VALU_DEP_4)
	v_dual_cndmask_b32 v17, v19, v17 :: v_dual_and_b32 v0, 4, v0
	v_sub_f32_dpp v18, v6, v6 quad_perm:[2,3,0,1] row_mask:0xf bank_mask:0xf bound_ctrl:1
	v_add_f32_dpp v6, v6, v6 quad_perm:[2,3,0,1] row_mask:0xf bank_mask:0xf bound_ctrl:1
	v_sub_f32_dpp v19, v5, v5 quad_perm:[2,3,0,1] row_mask:0xf bank_mask:0xf bound_ctrl:1
	v_add_f32_dpp v5, v5, v5 quad_perm:[2,3,0,1] row_mask:0xf bank_mask:0xf bound_ctrl:1
	v_cndmask_b32_e32 v8, v22, v8, vcc_lo
	s_delay_alu instid0(VALU_DEP_4) | instskip(SKIP_1) | instid1(VALU_DEP_4)
	v_cndmask_b32_e32 v6, v18, v6, vcc_lo
	v_mov_b32_dpp v18, v11 row_shl:4 row_mask:0xf bank_mask:0x5 bound_ctrl:1
	v_cndmask_b32_e32 v5, v19, v5, vcc_lo
	v_sub_f32_dpp v19, v3, v3 quad_perm:[2,3,0,1] row_mask:0xf bank_mask:0xf bound_ctrl:1
	v_add_f32_dpp v3, v3, v3 quad_perm:[2,3,0,1] row_mask:0xf bank_mask:0xf bound_ctrl:1
	v_cndmask_b32_e32 v14, v21, v14, vcc_lo
	v_sub_f32_dpp v21, v13, v13 quad_perm:[2,3,0,1] row_mask:0xf bank_mask:0xf bound_ctrl:1
	v_add_f32_dpp v13, v13, v13 quad_perm:[2,3,0,1] row_mask:0xf bank_mask:0xf bound_ctrl:1
	v_mov_b32_dpp v18, v11 row_shr:4 row_mask:0xf bank_mask:0xa bound_ctrl:1
	v_cndmask_b32_e32 v3, v19, v3, vcc_lo
	s_delay_alu instid0(VALU_DEP_3) | instskip(SKIP_4) | instid1(VALU_DEP_1)
	v_cndmask_b32_e32 v13, v21, v13, vcc_lo
	v_sub_f32_dpp v21, v2, v2 quad_perm:[2,3,0,1] row_mask:0xf bank_mask:0xf bound_ctrl:1
	v_add_f32_dpp v2, v2, v2 quad_perm:[2,3,0,1] row_mask:0xf bank_mask:0xf bound_ctrl:1
	v_dual_sub_f32 v22, v18, v11 :: v_dual_add_f32 v11, v11, v18
	v_mov_b32_dpp v18, v16 row_shl:4 row_mask:0xf bank_mask:0x5 bound_ctrl:1
	v_mov_b32_dpp v18, v16 row_shr:4 row_mask:0xf bank_mask:0xa bound_ctrl:1
	s_delay_alu instid0(VALU_DEP_4)
	v_cndmask_b32_e32 v2, v21, v2, vcc_lo
	v_cmp_eq_u32_e32 vcc_lo, 0, v0
	v_cndmask_b32_e32 v0, v22, v11, vcc_lo
	v_sub_f32_e32 v11, v20, v15
	v_add_f32_e32 v15, v15, v20
	v_mov_b32_dpp v21, v10 row_shl:4 row_mask:0xf bank_mask:0x5 bound_ctrl:1
	v_mov_b32_dpp v20, v14 row_shl:4 row_mask:0xf bank_mask:0x5 bound_ctrl:1
	s_delay_alu instid0(VALU_DEP_3) | instskip(SKIP_1) | instid1(VALU_DEP_4)
	v_cndmask_b32_e32 v11, v11, v15, vcc_lo
	v_dual_sub_f32 v15, v18, v16 :: v_dual_add_f32 v16, v16, v18
	v_mov_b32_dpp v21, v10 row_shr:4 row_mask:0xf bank_mask:0xa bound_ctrl:1
	s_delay_alu instid0(VALU_DEP_4) | instskip(NEXT) | instid1(VALU_DEP_4)
	v_mov_b32_dpp v20, v14 row_shr:4 row_mask:0xf bank_mask:0xa bound_ctrl:1
	v_mul_f32_e32 v11, 0x3db504f3, v11
	s_delay_alu instid0(VALU_DEP_4) | instskip(SKIP_3) | instid1(VALU_DEP_4)
	v_cndmask_b32_e32 v15, v15, v16, vcc_lo
	v_mov_b32_dpp v22, v17 row_shl:4 row_mask:0xf bank_mask:0x5 bound_ctrl:1
	v_sub_f32_e32 v19, v21, v10
	v_sub_f32_e32 v18, v20, v14
	v_dual_add_f32 v14, v14, v20 :: v_dual_mul_f32 v15, 0x3db504f3, v15
	s_delay_alu instid0(VALU_DEP_4) | instskip(SKIP_2) | instid1(VALU_DEP_2)
	v_mov_b32_dpp v22, v17 row_shr:4 row_mask:0xf bank_mask:0xa bound_ctrl:1
	v_add_f32_e32 v10, v10, v21
	v_mov_b32_dpp v21, v9 row_shl:4 row_mask:0xf bank_mask:0x5 bound_ctrl:1
	v_cndmask_b32_e32 v10, v19, v10, vcc_lo
	s_delay_alu instid0(VALU_DEP_2) | instskip(SKIP_1) | instid1(VALU_DEP_2)
	v_mov_b32_dpp v21, v9 row_shr:4 row_mask:0xf bank_mask:0xa bound_ctrl:1
	v_mov_b32_dpp v19, v12 row_shl:4 row_mask:0xf bank_mask:0x5 bound_ctrl:1
	v_sub_f32_e32 v20, v21, v9
	v_add_f32_e32 v9, v9, v21
	s_delay_alu instid0(VALU_DEP_3) | instskip(SKIP_1) | instid1(VALU_DEP_3)
	v_mov_b32_dpp v19, v12 row_shr:4 row_mask:0xf bank_mask:0xa bound_ctrl:1
	v_mov_b32_dpp v21, v8 row_shl:4 row_mask:0xf bank_mask:0x5 bound_ctrl:1
	v_cndmask_b32_e32 v9, v20, v9, vcc_lo
	v_mov_b32_dpp v20, v13 row_shl:4 row_mask:0xf bank_mask:0x5 bound_ctrl:1
	s_delay_alu instid0(VALU_DEP_3) | instskip(NEXT) | instid1(VALU_DEP_3)
	v_mov_b32_dpp v21, v8 row_shr:4 row_mask:0xf bank_mask:0xa bound_ctrl:1
	v_dual_mul_f32 v0, 0x3db504f3, v0 :: v_dual_mul_f32 v9, 0x3db504f3, v9
	s_delay_alu instid0(VALU_DEP_3) | instskip(SKIP_4) | instid1(VALU_DEP_3)
	v_mov_b32_dpp v20, v13 row_shr:4 row_mask:0xf bank_mask:0xa bound_ctrl:1
	v_sub_f32_e32 v16, v19, v12
	v_dual_add_f32 v12, v12, v19 :: v_dual_sub_f32 v19, v22, v17
	v_add_f32_e32 v17, v17, v22
	v_mul_f32_e32 v10, 0x3db504f3, v10
	v_cndmask_b32_e32 v12, v16, v12, vcc_lo
	s_delay_alu instid0(VALU_DEP_3) | instskip(SKIP_3) | instid1(VALU_DEP_2)
	v_cndmask_b32_e32 v16, v19, v17, vcc_lo
	v_sub_f32_e32 v19, v20, v13
	v_dual_add_f32 v13, v13, v20 :: v_dual_cndmask_b32 v14, v18, v14
	v_mov_b32_dpp v18, v7 row_shl:4 row_mask:0xf bank_mask:0x5 bound_ctrl:1
	v_cndmask_b32_e32 v13, v19, v13, vcc_lo
	s_delay_alu instid0(VALU_DEP_2) | instskip(NEXT) | instid1(VALU_DEP_2)
	v_mov_b32_dpp v18, v7 row_shr:4 row_mask:0xf bank_mask:0xa bound_ctrl:1
	v_mul_f32_e32 v13, 0x3db504f3, v13
	s_delay_alu instid0(VALU_DEP_2) | instskip(SKIP_2) | instid1(VALU_DEP_2)
	v_sub_f32_e32 v17, v18, v7
	v_add_f32_e32 v7, v7, v18
	v_mov_b32_dpp v18, v6 row_shl:4 row_mask:0xf bank_mask:0x5 bound_ctrl:1
	v_cndmask_b32_e32 v7, v17, v7, vcc_lo
	s_delay_alu instid0(VALU_DEP_2) | instskip(SKIP_2) | instid1(VALU_DEP_3)
	v_mov_b32_dpp v18, v6 row_shr:4 row_mask:0xf bank_mask:0xa bound_ctrl:1
	v_mov_b32_dpp v17, v5 row_shl:4 row_mask:0xf bank_mask:0x5 bound_ctrl:1
	v_mul_f32_e32 v14, 0x3db504f3, v14
	v_sub_f32_e32 v19, v18, v6
	v_add_f32_e32 v6, v6, v18
	v_mov_b32_dpp v18, v3 row_shl:4 row_mask:0xf bank_mask:0x5 bound_ctrl:1
	v_mov_b32_dpp v17, v5 row_shr:4 row_mask:0xf bank_mask:0xa bound_ctrl:1
	s_delay_alu instid0(VALU_DEP_2)
	v_mov_b32_dpp v18, v3 row_shr:4 row_mask:0xf bank_mask:0xa bound_ctrl:1
	v_sub_f32_e32 v20, v21, v8
	v_add_f32_e32 v8, v8, v21
	v_mov_b32_dpp v21, v2 row_shl:4 row_mask:0xf bank_mask:0x5 bound_ctrl:1
	v_sub_f32_e32 v22, v17, v5
	v_dual_add_f32 v5, v5, v17 :: v_dual_mul_f32 v12, 0x3db504f3, v12
	s_delay_alu instid0(VALU_DEP_4) | instskip(SKIP_2) | instid1(VALU_DEP_4)
	v_cndmask_b32_e32 v8, v20, v8, vcc_lo
	v_mov_b32_dpp v20, v4 row_shl:4 row_mask:0xf bank_mask:0x5 bound_ctrl:1
	v_mov_b32_dpp v21, v2 row_shr:4 row_mask:0xf bank_mask:0xa bound_ctrl:1
	v_cndmask_b32_e32 v5, v22, v5, vcc_lo
	s_delay_alu instid0(VALU_DEP_3) | instskip(NEXT) | instid1(VALU_DEP_1)
	v_mov_b32_dpp v20, v4 row_shr:4 row_mask:0xf bank_mask:0xa bound_ctrl:1
	v_sub_f32_e32 v17, v20, v4
	v_add_f32_e32 v4, v4, v20
	v_sub_f32_e32 v20, v21, v2
	v_add_f32_e32 v2, v2, v21
	v_sub_f32_e32 v21, v18, v3
	s_delay_alu instid0(VALU_DEP_4) | instskip(NEXT) | instid1(VALU_DEP_3)
	v_dual_add_f32 v3, v3, v18 :: v_dual_cndmask_b32 v4, v17, v4
	v_dual_mul_f32 v17, 0x3db504f3, v7 :: v_dual_cndmask_b32 v2, v20, v2
	v_mul_f32_e32 v7, 0x3db504f3, v8
	s_delay_alu instid0(VALU_DEP_3) | instskip(SKIP_1) | instid1(VALU_DEP_4)
	v_dual_cndmask_b32 v3, v21, v3 :: v_dual_cndmask_b32 v6, v19, v6
	v_mul_f32_e32 v16, 0x3db504f3, v16
	v_dual_mul_f32 v8, 0x3db504f3, v5 :: v_dual_mul_f32 v19, 0x3db504f3, v2
	v_mul_f32_e32 v18, 0x3db504f3, v4
	s_delay_alu instid0(VALU_DEP_4)
	v_mul_f32_e32 v6, 0x3db504f3, v6
	v_mul_f32_e32 v20, 0x3db504f3, v3
	v_perm_b32 v5, v16, v12, 0x7060302
	v_perm_b32 v4, v9, v14, 0x7060302
	;; [unrolled: 1-line block ×8, first 2 shown]
	buffer_store_b128 v[2:5], v1, s[0:3], 0 offen
	;;#ASMSTART
	s_nop 0
	;;#ASMEND
	buffer_store_b128 v[6:9], v1, s[0:3], 16 offen
	;;#ASMSTART
	s_nop 0
	;;#ASMEND
	s_nop 0
	s_sendmsg sendmsg(MSG_DEALLOC_VGPRS)
	s_endpgm
	.section	.rodata,"a",@progbits
	.p2align	6, 0x0
	.amdhsa_kernel _ZN5aiter55rope_hadamard_rotate_activation_fp4quant_inplace_kernelItLi128ELb0ELi16EEEvPT_PKS1_S4_S4_PKliiiii
		.amdhsa_group_segment_fixed_size 0
		.amdhsa_private_segment_fixed_size 0
		.amdhsa_kernarg_size 60
		.amdhsa_user_sgpr_count 15
		.amdhsa_user_sgpr_dispatch_ptr 0
		.amdhsa_user_sgpr_queue_ptr 0
		.amdhsa_user_sgpr_kernarg_segment_ptr 1
		.amdhsa_user_sgpr_dispatch_id 0
		.amdhsa_user_sgpr_private_segment_size 0
		.amdhsa_wavefront_size32 1
		.amdhsa_uses_dynamic_stack 0
		.amdhsa_enable_private_segment 0
		.amdhsa_system_sgpr_workgroup_id_x 1
		.amdhsa_system_sgpr_workgroup_id_y 0
		.amdhsa_system_sgpr_workgroup_id_z 0
		.amdhsa_system_sgpr_workgroup_info 0
		.amdhsa_system_vgpr_workitem_id 0
		.amdhsa_next_free_vgpr 43
		.amdhsa_next_free_sgpr 20
		.amdhsa_reserve_vcc 1
		.amdhsa_float_round_mode_32 0
		.amdhsa_float_round_mode_16_64 0
		.amdhsa_float_denorm_mode_32 3
		.amdhsa_float_denorm_mode_16_64 3
		.amdhsa_dx10_clamp 1
		.amdhsa_ieee_mode 1
		.amdhsa_fp16_overflow 0
		.amdhsa_workgroup_processor_mode 1
		.amdhsa_memory_ordered 1
		.amdhsa_forward_progress 0
		.amdhsa_shared_vgpr_count 0
		.amdhsa_exception_fp_ieee_invalid_op 0
		.amdhsa_exception_fp_denorm_src 0
		.amdhsa_exception_fp_ieee_div_zero 0
		.amdhsa_exception_fp_ieee_overflow 0
		.amdhsa_exception_fp_ieee_underflow 0
		.amdhsa_exception_fp_ieee_inexact 0
		.amdhsa_exception_int_div_zero 0
	.end_amdhsa_kernel
	.section	.text._ZN5aiter55rope_hadamard_rotate_activation_fp4quant_inplace_kernelItLi128ELb0ELi16EEEvPT_PKS1_S4_S4_PKliiiii,"axG",@progbits,_ZN5aiter55rope_hadamard_rotate_activation_fp4quant_inplace_kernelItLi128ELb0ELi16EEEvPT_PKS1_S4_S4_PKliiiii,comdat
.Lfunc_end26:
	.size	_ZN5aiter55rope_hadamard_rotate_activation_fp4quant_inplace_kernelItLi128ELb0ELi16EEEvPT_PKS1_S4_S4_PKliiiii, .Lfunc_end26-_ZN5aiter55rope_hadamard_rotate_activation_fp4quant_inplace_kernelItLi128ELb0ELi16EEEvPT_PKS1_S4_S4_PKliiiii
                                        ; -- End function
	.section	.AMDGPU.csdata,"",@progbits
; Kernel info:
; codeLenInByte = 2752
; NumSgprs: 22
; NumVgprs: 43
; ScratchSize: 0
; MemoryBound: 0
; FloatMode: 240
; IeeeMode: 1
; LDSByteSize: 0 bytes/workgroup (compile time only)
; SGPRBlocks: 2
; VGPRBlocks: 5
; NumSGPRsForWavesPerEU: 22
; NumVGPRsForWavesPerEU: 43
; Occupancy: 16
; WaveLimiterHint : 1
; COMPUTE_PGM_RSRC2:SCRATCH_EN: 0
; COMPUTE_PGM_RSRC2:USER_SGPR: 15
; COMPUTE_PGM_RSRC2:TRAP_HANDLER: 0
; COMPUTE_PGM_RSRC2:TGID_X_EN: 1
; COMPUTE_PGM_RSRC2:TGID_Y_EN: 0
; COMPUTE_PGM_RSRC2:TGID_Z_EN: 0
; COMPUTE_PGM_RSRC2:TIDIG_COMP_CNT: 0
	.section	.text._ZN5aiter55rope_hadamard_rotate_activation_fp4quant_inplace_kernelIDF16_Li256ELb0ELi16EEEvPT_PKS1_S4_S4_PKliiiii,"axG",@progbits,_ZN5aiter55rope_hadamard_rotate_activation_fp4quant_inplace_kernelIDF16_Li256ELb0ELi16EEEvPT_PKS1_S4_S4_PKliiiii,comdat
	.protected	_ZN5aiter55rope_hadamard_rotate_activation_fp4quant_inplace_kernelIDF16_Li256ELb0ELi16EEEvPT_PKS1_S4_S4_PKliiiii ; -- Begin function _ZN5aiter55rope_hadamard_rotate_activation_fp4quant_inplace_kernelIDF16_Li256ELb0ELi16EEEvPT_PKS1_S4_S4_PKliiiii
	.globl	_ZN5aiter55rope_hadamard_rotate_activation_fp4quant_inplace_kernelIDF16_Li256ELb0ELi16EEEvPT_PKS1_S4_S4_PKliiiii
	.p2align	8
	.type	_ZN5aiter55rope_hadamard_rotate_activation_fp4quant_inplace_kernelIDF16_Li256ELb0ELi16EEEvPT_PKS1_S4_S4_PKliiiii,@function
_ZN5aiter55rope_hadamard_rotate_activation_fp4quant_inplace_kernelIDF16_Li256ELb0ELi16EEEvPT_PKS1_S4_S4_PKliiiii: ; @_ZN5aiter55rope_hadamard_rotate_activation_fp4quant_inplace_kernelIDF16_Li256ELb0ELi16EEEvPT_PKS1_S4_S4_PKliiiii
; %bb.0:
	s_clause 0x1
	s_load_b128 s[8:11], s[0:1], 0x28
	s_load_b128 s[4:7], s[0:1], 0x0
	s_lshl_b32 s14, s15, 1
	v_lshlrev_b32_e32 v9, 5, v0
	s_mov_b32 s19, -1
	v_lshrrev_b32_e32 v35, 4, v0
	v_lshlrev_b32_e32 v10, 4, v0
                                        ; implicit-def: $vgpr26
                                        ; implicit-def: $vgpr27
                                        ; implicit-def: $vgpr21
                                        ; implicit-def: $vgpr25
                                        ; implicit-def: $vgpr28
                                        ; implicit-def: $vgpr29
                                        ; implicit-def: $vgpr20
                                        ; implicit-def: $vgpr24
                                        ; implicit-def: $vgpr30
                                        ; implicit-def: $vgpr31
                                        ; implicit-def: $vgpr19
                                        ; implicit-def: $vgpr23
                                        ; implicit-def: $vgpr32
                                        ; implicit-def: $vgpr33
                                        ; implicit-def: $vgpr18
                                        ; implicit-def: $vgpr22
	s_delay_alu instid0(VALU_DEP_2) | instskip(NEXT) | instid1(VALU_DEP_1)
	v_lshlrev_b32_e32 v11, 8, v35
	v_sub_nc_u32_e32 v34, v10, v11
	s_waitcnt lgkmcnt(0)
	s_mul_hi_i32 s3, s11, s14
	s_mul_i32 s2, s11, s14
	s_sub_i32 s12, s8, s14
	s_lshl_b64 s[2:3], s[2:3], 1
	s_sub_i32 s13, 0x100, s10
	s_min_i32 s12, s12, 2
	s_add_u32 s16, s6, s2
	s_mul_i32 s6, s12, s11
	s_addc_u32 s7, s7, s3
	s_lshl_b32 s18, s6, 1
	s_and_b32 s17, s7, 0xffff
	s_clause 0x1
	buffer_load_b128 v[5:8], v9, s[16:19], 0 offen
	buffer_load_b128 v[1:4], v9, s[16:19], 16 offen
	v_cmp_le_i32_e32 vcc_lo, s13, v34
	s_waitcnt vmcnt(1)
	v_lshrrev_b32_e32 v17, 16, v5
	v_lshrrev_b32_e32 v16, 16, v6
	;; [unrolled: 1-line block ×4, first 2 shown]
	s_waitcnt vmcnt(0)
	v_lshrrev_b32_e32 v13, 16, v1
	v_lshrrev_b32_e32 v12, 16, v2
	;; [unrolled: 1-line block ×4, first 2 shown]
	s_and_saveexec_b32 s6, vcc_lo
	s_delay_alu instid0(SALU_CYCLE_1)
	s_xor_b32 s6, exec_lo, s6
	s_cbranch_execz .LBB27_2
; %bb.1:
	v_cvt_f32_f16_e32 v17, v17
	v_add_nc_u32_e32 v18, s14, v35
	s_add_i32 s7, s8, -1
	v_cvt_f32_f16_e32 v15, v15
	s_load_b64 s[14:15], s[0:1], 0x20
	v_subrev_nc_u32_e32 v21, s13, v34
	v_cmp_gt_i32_e32 vcc_lo, s8, v18
	v_cvt_f32_f16_e32 v13, v13
	v_cvt_f32_f16_e32 v11, v11
	;; [unrolled: 1-line block ×3, first 2 shown]
	v_lshrrev_b32_e32 v22, 31, v21
	v_cndmask_b32_e32 v18, s7, v18, vcc_lo
	s_ctz_i32_b32 s7, s9
	v_cvt_f32_f16_e32 v14, v14
	v_cvt_f32_f16_e32 v12, v12
	;; [unrolled: 1-line block ×3, first 2 shown]
	v_ashrrev_i32_e32 v18, s7, v18
	s_lshr_b32 s7, s10, 31
	s_delay_alu instid0(SALU_CYCLE_1) | instskip(SKIP_1) | instid1(VALU_DEP_1)
	s_add_i32 s7, s10, s7
	s_load_b128 s[8:11], s[0:1], 0x10
	v_ashrrev_i32_e32 v19, 31, v18
	s_ashr_i32 s0, s7, 1
	s_delay_alu instid0(SALU_CYCLE_1) | instskip(NEXT) | instid1(VALU_DEP_1)
	s_ashr_i32 s1, s0, 31
	v_lshlrev_b64 v[18:19], 3, v[18:19]
	s_waitcnt lgkmcnt(0)
	s_delay_alu instid0(VALU_DEP_1) | instskip(NEXT) | instid1(VALU_DEP_2)
	v_add_co_u32 v18, vcc_lo, s14, v18
	v_add_co_ci_u32_e32 v19, vcc_lo, s15, v19, vcc_lo
	global_load_b64 v[18:19], v[18:19], off
	s_waitcnt vmcnt(0)
	v_mul_lo_u32 v23, v19, s0
	v_mul_lo_u32 v24, v18, s1
	v_mad_u64_u32 v[19:20], null, v18, s0, 0
	v_add_nc_u32_e32 v18, v21, v22
	s_delay_alu instid0(VALU_DEP_1) | instskip(NEXT) | instid1(VALU_DEP_3)
	v_ashrrev_i32_e32 v21, 1, v18
	v_add3_u32 v20, v20, v24, v23
	s_delay_alu instid0(VALU_DEP_2) | instskip(NEXT) | instid1(VALU_DEP_2)
	v_ashrrev_i32_e32 v22, 31, v21
	v_lshlrev_b64 v[18:19], 1, v[19:20]
	s_delay_alu instid0(VALU_DEP_2) | instskip(NEXT) | instid1(VALU_DEP_2)
	v_lshlrev_b64 v[20:21], 1, v[21:22]
	v_add_co_u32 v22, vcc_lo, s8, v18
	s_delay_alu instid0(VALU_DEP_3) | instskip(SKIP_2) | instid1(VALU_DEP_4)
	v_add_co_ci_u32_e32 v23, vcc_lo, s9, v19, vcc_lo
	v_add_co_u32 v24, vcc_lo, s10, v18
	v_add_co_ci_u32_e32 v25, vcc_lo, s11, v19, vcc_lo
	v_add_co_u32 v18, vcc_lo, v22, v20
	s_delay_alu instid0(VALU_DEP_4) | instskip(NEXT) | instid1(VALU_DEP_4)
	v_add_co_ci_u32_e32 v19, vcc_lo, v23, v21, vcc_lo
	v_add_co_u32 v20, vcc_lo, v24, v20
	s_delay_alu instid0(VALU_DEP_4)
	v_add_co_ci_u32_e32 v21, vcc_lo, v25, v21, vcc_lo
	global_load_b128 v[33:36], v[18:19], off
	global_load_b128 v[37:40], v[20:21], off
	s_waitcnt vmcnt(1)
	v_cvt_f32_f16_e32 v18, v33
	s_waitcnt vmcnt(0)
	v_cvt_f32_f16_e32 v19, v37
	v_lshrrev_b32_e32 v20, 16, v33
	v_lshrrev_b32_e32 v21, 16, v37
	v_cvt_f32_f16_e32 v22, v34
	v_cvt_f32_f16_e32 v23, v38
	v_lshrrev_b32_e32 v24, 16, v34
	v_lshrrev_b32_e32 v25, 16, v38
	v_cvt_f32_f16_e32 v26, v35
	;; [unrolled: 4-line block ×3, first 2 shown]
	v_cvt_f32_f16_e32 v31, v40
	v_lshrrev_b32_e32 v32, 16, v36
	v_lshrrev_b32_e32 v41, 16, v40
	v_mul_f32_e32 v19, v19, v17
	v_cvt_f32_f16_e32 v20, v20
	v_mul_f32_e32 v17, v18, v17
	v_cvt_f32_f16_e32 v21, v21
	v_mul_f32_e32 v23, v23, v15
	v_mul_f32_e32 v15, v22, v15
	v_cvt_f32_f16_e32 v24, v24
	v_cvt_f32_f16_e32 v25, v25
	v_mul_f32_e32 v27, v27, v13
	v_mul_f32_e32 v13, v26, v13
	v_cvt_f32_f16_e32 v26, v28
	;; [unrolled: 4-line block ×3, first 2 shown]
	v_cvt_f32_f16_e32 v31, v41
	v_fma_mix_f32 v22, v33, v5, -v19 op_sel_hi:[1,1,0]
	v_fma_mix_f32 v18, v37, v5, v17 op_sel_hi:[1,1,0]
	v_mul_f32_e32 v5, v21, v16
	v_mul_f32_e32 v16, v20, v16
	v_fma_mix_f32 v23, v34, v7, -v23 op_sel_hi:[1,1,0]
	v_fma_mix_f32 v19, v38, v7, v15 op_sel_hi:[1,1,0]
	v_mul_f32_e32 v7, v25, v14
	v_mul_f32_e32 v14, v24, v14
	;; [unrolled: 4-line block ×4, first 2 shown]
	v_fma_mix_f32 v33, v33, v6, -v5 op_sel:[1,0,0] op_sel_hi:[1,1,0]
	v_fma_mix_f32 v32, v37, v6, v16 op_sel:[1,0,0] op_sel_hi:[1,1,0]
	v_fma_mix_f32 v31, v34, v8, -v7 op_sel:[1,0,0] op_sel_hi:[1,1,0]
	v_fma_mix_f32 v30, v38, v8, v14 op_sel:[1,0,0] op_sel_hi:[1,1,0]
	;; [unrolled: 2-line block ×4, first 2 shown]
                                        ; implicit-def: $vgpr5_vgpr6_vgpr7_vgpr8
                                        ; implicit-def: $vgpr1_vgpr2_vgpr3_vgpr4
                                        ; implicit-def: $vgpr17
                                        ; implicit-def: $vgpr16
                                        ; implicit-def: $vgpr15
                                        ; implicit-def: $vgpr14
                                        ; implicit-def: $vgpr13
                                        ; implicit-def: $vgpr12
                                        ; implicit-def: $vgpr11
                                        ; implicit-def: $vgpr10
.LBB27_2:
	s_and_not1_saveexec_b32 s0, s6
	s_cbranch_execz .LBB27_4
; %bb.3:
	v_cvt_f32_f16_e32 v18, v17
	v_cvt_f32_f16_e32 v22, v5
	;; [unrolled: 1-line block ×16, first 2 shown]
.LBB27_4:
	s_or_b32 exec_lo, exec_lo, s0
	v_dual_add_f32 v1, v22, v18 :: v_dual_sub_f32 v4, v33, v32
	v_dual_sub_f32 v2, v22, v18 :: v_dual_add_f32 v3, v33, v32
	v_dual_add_f32 v5, v23, v19 :: v_dual_add_f32 v10, v24, v20
	v_dual_sub_f32 v6, v23, v19 :: v_dual_sub_f32 v11, v24, v20
	v_dual_add_f32 v7, v31, v30 :: v_dual_add_f32 v12, v29, v28
	v_dual_sub_f32 v8, v31, v30 :: v_dual_sub_f32 v13, v29, v28
	v_dual_add_f32 v14, v25, v21 :: v_dual_sub_f32 v17, v27, v26
	v_dual_sub_f32 v15, v25, v21 :: v_dual_add_f32 v16, v27, v26
	v_add_f32_e32 v18, v1, v3
	v_sub_f32_e32 v1, v1, v3
	v_add_f32_e32 v3, v2, v4
	v_sub_f32_e32 v2, v2, v4
	v_add_f32_e32 v4, v5, v7
	v_sub_f32_e32 v5, v5, v7
	v_add_f32_e32 v7, v6, v8
	v_sub_f32_e32 v6, v6, v8
	v_add_f32_e32 v8, v10, v12
	v_sub_f32_e32 v10, v10, v12
	v_add_f32_e32 v12, v11, v13
	v_sub_f32_e32 v11, v11, v13
	v_add_f32_e32 v13, v14, v16
	v_sub_f32_e32 v14, v14, v16
	v_add_f32_e32 v16, v15, v17
	v_sub_f32_e32 v15, v15, v17
	v_add_f32_e32 v17, v18, v4
	v_sub_f32_e32 v4, v18, v4
	v_add_f32_e32 v18, v3, v7
	v_sub_f32_e32 v3, v3, v7
	v_add_f32_e32 v7, v1, v5
	v_sub_f32_e32 v1, v1, v5
	v_add_f32_e32 v5, v2, v6
	v_sub_f32_e32 v2, v2, v6
	v_add_f32_e32 v6, v8, v13
	v_sub_f32_e32 v8, v8, v13
	v_add_f32_e32 v13, v12, v16
	v_sub_f32_e32 v12, v12, v16
	v_add_f32_e32 v16, v10, v14
	v_sub_f32_e32 v10, v10, v14
	v_add_f32_e32 v14, v11, v15
	v_sub_f32_e32 v11, v11, v15
	v_add_f32_e32 v15, v17, v6
	v_dual_sub_f32 v6, v17, v6 :: v_dual_add_f32 v17, v18, v13
	v_dual_sub_f32 v13, v18, v13 :: v_dual_add_f32 v18, v7, v16
	v_sub_f32_e32 v7, v7, v16
	s_delay_alu instid0(VALU_DEP_4)
	v_sub_f32_dpp v19, v15, v15 quad_perm:[1,0,3,2] row_mask:0xf bank_mask:0xf bound_ctrl:1
	v_add_f32_dpp v15, v15, v15 quad_perm:[1,0,3,2] row_mask:0xf bank_mask:0xf bound_ctrl:1
	v_add_f32_e32 v16, v5, v14
	v_dual_sub_f32 v5, v5, v14 :: v_dual_add_f32 v14, v4, v8
	v_sub_f32_e32 v4, v4, v8
	v_sub_f32_dpp v20, v17, v17 quad_perm:[1,0,3,2] row_mask:0xf bank_mask:0xf bound_ctrl:1
	v_add_f32_dpp v17, v17, v17 quad_perm:[1,0,3,2] row_mask:0xf bank_mask:0xf bound_ctrl:1
	v_add_f32_e32 v8, v3, v12
	v_dual_sub_f32 v3, v3, v12 :: v_dual_add_f32 v12, v1, v10
	v_dual_sub_f32 v1, v1, v10 :: v_dual_and_b32 v10, 1, v0
	v_sub_f32_dpp v21, v18, v18 quad_perm:[1,0,3,2] row_mask:0xf bank_mask:0xf bound_ctrl:1
	s_add_u32 s0, s4, s2
	s_addc_u32 s1, s5, s3
	s_mov_b32 s3, 0x3d800000
	v_cmp_eq_u32_e32 vcc_lo, 0, v10
	v_add_f32_dpp v10, v18, v18 quad_perm:[1,0,3,2] row_mask:0xf bank_mask:0xf bound_ctrl:1
	v_add_f32_e32 v18, v2, v11
	v_sub_f32_e32 v2, v2, v11
	s_lshl_b32 s2, s12, 9
	v_cndmask_b32_e32 v11, v19, v15, vcc_lo
	v_sub_f32_dpp v19, v14, v14 quad_perm:[1,0,3,2] row_mask:0xf bank_mask:0xf bound_ctrl:1
	v_add_f32_dpp v14, v14, v14 quad_perm:[1,0,3,2] row_mask:0xf bank_mask:0xf bound_ctrl:1
	v_dual_cndmask_b32 v10, v21, v10 :: v_dual_cndmask_b32 v15, v20, v17
	v_sub_f32_dpp v17, v16, v16 quad_perm:[1,0,3,2] row_mask:0xf bank_mask:0xf bound_ctrl:1
	v_add_f32_dpp v16, v16, v16 quad_perm:[1,0,3,2] row_mask:0xf bank_mask:0xf bound_ctrl:1
	s_delay_alu instid0(VALU_DEP_4)
	v_cndmask_b32_e32 v14, v19, v14, vcc_lo
	v_sub_f32_dpp v19, v13, v13 quad_perm:[1,0,3,2] row_mask:0xf bank_mask:0xf bound_ctrl:1
	v_add_f32_dpp v13, v13, v13 quad_perm:[1,0,3,2] row_mask:0xf bank_mask:0xf bound_ctrl:1
	v_sub_f32_dpp v20, v8, v8 quad_perm:[1,0,3,2] row_mask:0xf bank_mask:0xf bound_ctrl:1
	v_add_f32_dpp v8, v8, v8 quad_perm:[1,0,3,2] row_mask:0xf bank_mask:0xf bound_ctrl:1
	s_and_b32 s1, s1, 0xffff
	s_delay_alu instid0(VALU_DEP_3)
	v_cndmask_b32_e32 v13, v19, v13, vcc_lo
	v_sub_f32_dpp v21, v12, v12 quad_perm:[1,0,3,2] row_mask:0xf bank_mask:0xf bound_ctrl:1
	v_add_f32_dpp v12, v12, v12 quad_perm:[1,0,3,2] row_mask:0xf bank_mask:0xf bound_ctrl:1
	v_sub_f32_dpp v19, v1, v1 quad_perm:[1,0,3,2] row_mask:0xf bank_mask:0xf bound_ctrl:1
	v_add_f32_dpp v1, v1, v1 quad_perm:[1,0,3,2] row_mask:0xf bank_mask:0xf bound_ctrl:1
	v_cndmask_b32_e32 v16, v17, v16, vcc_lo
	s_delay_alu instid0(VALU_DEP_4) | instskip(SKIP_3) | instid1(VALU_DEP_2)
	v_cndmask_b32_e32 v12, v21, v12, vcc_lo
	v_sub_f32_dpp v21, v5, v5 quad_perm:[1,0,3,2] row_mask:0xf bank_mask:0xf bound_ctrl:1
	v_add_f32_dpp v5, v5, v5 quad_perm:[1,0,3,2] row_mask:0xf bank_mask:0xf bound_ctrl:1
	v_cndmask_b32_e32 v1, v19, v1, vcc_lo
	v_cndmask_b32_e32 v5, v21, v5, vcc_lo
	v_sub_f32_dpp v22, v18, v18 quad_perm:[1,0,3,2] row_mask:0xf bank_mask:0xf bound_ctrl:1
	v_add_f32_dpp v18, v18, v18 quad_perm:[1,0,3,2] row_mask:0xf bank_mask:0xf bound_ctrl:1
	v_and_b32_e32 v21, 2, v0
	s_delay_alu instid0(VALU_DEP_2) | instskip(SKIP_4) | instid1(VALU_DEP_3)
	v_cndmask_b32_e32 v17, v22, v18, vcc_lo
	v_sub_f32_dpp v18, v6, v6 quad_perm:[1,0,3,2] row_mask:0xf bank_mask:0xf bound_ctrl:1
	v_add_f32_dpp v6, v6, v6 quad_perm:[1,0,3,2] row_mask:0xf bank_mask:0xf bound_ctrl:1
	v_sub_f32_dpp v22, v4, v4 quad_perm:[1,0,3,2] row_mask:0xf bank_mask:0xf bound_ctrl:1
	v_add_f32_dpp v4, v4, v4 quad_perm:[1,0,3,2] row_mask:0xf bank_mask:0xf bound_ctrl:1
	v_cndmask_b32_e32 v6, v18, v6, vcc_lo
	v_sub_f32_dpp v18, v3, v3 quad_perm:[1,0,3,2] row_mask:0xf bank_mask:0xf bound_ctrl:1
	v_add_f32_dpp v3, v3, v3 quad_perm:[1,0,3,2] row_mask:0xf bank_mask:0xf bound_ctrl:1
	s_delay_alu instid0(VALU_DEP_4) | instskip(SKIP_2) | instid1(VALU_DEP_4)
	v_cndmask_b32_e32 v4, v22, v4, vcc_lo
	v_sub_f32_dpp v22, v11, v11 quad_perm:[2,3,0,1] row_mask:0xf bank_mask:0xf bound_ctrl:1
	v_add_f32_dpp v11, v11, v11 quad_perm:[2,3,0,1] row_mask:0xf bank_mask:0xf bound_ctrl:1
	v_cndmask_b32_e32 v3, v18, v3, vcc_lo
	v_sub_f32_dpp v18, v15, v15 quad_perm:[2,3,0,1] row_mask:0xf bank_mask:0xf bound_ctrl:1
	v_add_f32_dpp v15, v15, v15 quad_perm:[2,3,0,1] row_mask:0xf bank_mask:0xf bound_ctrl:1
	;; [unrolled: 3-line block ×3, first 2 shown]
	v_sub_f32_dpp v19, v10, v10 quad_perm:[2,3,0,1] row_mask:0xf bank_mask:0xf bound_ctrl:1
	v_add_f32_dpp v10, v10, v10 quad_perm:[2,3,0,1] row_mask:0xf bank_mask:0xf bound_ctrl:1
	s_delay_alu instid0(VALU_DEP_3) | instskip(SKIP_2) | instid1(VALU_DEP_1)
	v_cndmask_b32_e32 v7, v20, v7, vcc_lo
	v_sub_f32_dpp v20, v2, v2 quad_perm:[1,0,3,2] row_mask:0xf bank_mask:0xf bound_ctrl:1
	v_add_f32_dpp v2, v2, v2 quad_perm:[1,0,3,2] row_mask:0xf bank_mask:0xf bound_ctrl:1
	v_cndmask_b32_e32 v2, v20, v2, vcc_lo
	v_cmp_eq_u32_e32 vcc_lo, 0, v21
	v_sub_f32_dpp v20, v16, v16 quad_perm:[2,3,0,1] row_mask:0xf bank_mask:0xf bound_ctrl:1
	v_add_f32_dpp v16, v16, v16 quad_perm:[2,3,0,1] row_mask:0xf bank_mask:0xf bound_ctrl:1
	v_cndmask_b32_e32 v10, v19, v10, vcc_lo
	v_sub_f32_dpp v19, v17, v17 quad_perm:[2,3,0,1] row_mask:0xf bank_mask:0xf bound_ctrl:1
	v_add_f32_dpp v17, v17, v17 quad_perm:[2,3,0,1] row_mask:0xf bank_mask:0xf bound_ctrl:1
	v_cndmask_b32_e32 v11, v22, v11, vcc_lo
	;; [unrolled: 3-line block ×3, first 2 shown]
	v_cndmask_b32_e32 v17, v19, v17, vcc_lo
	v_sub_f32_dpp v18, v12, v12 quad_perm:[2,3,0,1] row_mask:0xf bank_mask:0xf bound_ctrl:1
	v_add_f32_dpp v12, v12, v12 quad_perm:[2,3,0,1] row_mask:0xf bank_mask:0xf bound_ctrl:1
	v_cndmask_b32_e32 v14, v21, v14, vcc_lo
	v_sub_f32_dpp v21, v13, v13 quad_perm:[2,3,0,1] row_mask:0xf bank_mask:0xf bound_ctrl:1
	v_add_f32_dpp v13, v13, v13 quad_perm:[2,3,0,1] row_mask:0xf bank_mask:0xf bound_ctrl:1
	v_sub_f32_dpp v22, v8, v8 quad_perm:[2,3,0,1] row_mask:0xf bank_mask:0xf bound_ctrl:1
	v_cndmask_b32_e32 v12, v18, v12, vcc_lo
	v_sub_f32_dpp v18, v5, v5 quad_perm:[2,3,0,1] row_mask:0xf bank_mask:0xf bound_ctrl:1
	v_add_f32_dpp v5, v5, v5 quad_perm:[2,3,0,1] row_mask:0xf bank_mask:0xf bound_ctrl:1
	v_add_f32_dpp v8, v8, v8 quad_perm:[2,3,0,1] row_mask:0xf bank_mask:0xf bound_ctrl:1
	v_cndmask_b32_e32 v13, v21, v13, vcc_lo
	v_sub_f32_dpp v21, v1, v1 quad_perm:[2,3,0,1] row_mask:0xf bank_mask:0xf bound_ctrl:1
	v_add_f32_dpp v1, v1, v1 quad_perm:[2,3,0,1] row_mask:0xf bank_mask:0xf bound_ctrl:1
	v_cndmask_b32_e32 v16, v20, v16, vcc_lo
	v_sub_f32_dpp v20, v6, v6 quad_perm:[2,3,0,1] row_mask:0xf bank_mask:0xf bound_ctrl:1
	v_add_f32_dpp v6, v6, v6 quad_perm:[2,3,0,1] row_mask:0xf bank_mask:0xf bound_ctrl:1
	v_cndmask_b32_e32 v5, v18, v5, vcc_lo
	v_cndmask_b32_e32 v1, v21, v1, vcc_lo
	v_mov_b32_dpp v18, v11 row_shl:4 row_mask:0xf bank_mask:0x5 bound_ctrl:1
	v_and_b32_e32 v21, 4, v0
	v_and_b32_e32 v0, 8, v0
	s_delay_alu instid0(VALU_DEP_3) | instskip(SKIP_3) | instid1(VALU_DEP_4)
	v_mov_b32_dpp v18, v11 row_shr:4 row_mask:0xf bank_mask:0xa bound_ctrl:1
	v_cndmask_b32_e32 v8, v22, v8, vcc_lo
	v_sub_f32_dpp v22, v7, v7 quad_perm:[2,3,0,1] row_mask:0xf bank_mask:0xf bound_ctrl:1
	v_add_f32_dpp v7, v7, v7 quad_perm:[2,3,0,1] row_mask:0xf bank_mask:0xf bound_ctrl:1
	v_dual_cndmask_b32 v6, v20, v6 :: v_dual_sub_f32 v23, v18, v11
	v_sub_f32_dpp v20, v3, v3 quad_perm:[2,3,0,1] row_mask:0xf bank_mask:0xf bound_ctrl:1
	v_add_f32_dpp v3, v3, v3 quad_perm:[2,3,0,1] row_mask:0xf bank_mask:0xf bound_ctrl:1
	s_delay_alu instid0(VALU_DEP_4) | instskip(SKIP_2) | instid1(VALU_DEP_4)
	v_cndmask_b32_e32 v7, v22, v7, vcc_lo
	v_mov_b32_dpp v22, v10 row_shl:4 row_mask:0xf bank_mask:0x5 bound_ctrl:1
	v_add_f32_e32 v11, v11, v18
	v_cndmask_b32_e32 v3, v20, v3, vcc_lo
	v_mov_b32_dpp v20, v15 row_shl:4 row_mask:0xf bank_mask:0x5 bound_ctrl:1
	v_sub_f32_dpp v19, v4, v4 quad_perm:[2,3,0,1] row_mask:0xf bank_mask:0xf bound_ctrl:1
	v_add_f32_dpp v4, v4, v4 quad_perm:[2,3,0,1] row_mask:0xf bank_mask:0xf bound_ctrl:1
	v_mov_b32_dpp v22, v10 row_shr:4 row_mask:0xf bank_mask:0xa bound_ctrl:1
	s_delay_alu instid0(VALU_DEP_4) | instskip(NEXT) | instid1(VALU_DEP_1)
	v_mov_b32_dpp v20, v15 row_shr:4 row_mask:0xf bank_mask:0xa bound_ctrl:1
	v_dual_sub_f32 v18, v20, v15 :: v_dual_add_f32 v15, v15, v20
	s_delay_alu instid0(VALU_DEP_4)
	v_cndmask_b32_e32 v4, v19, v4, vcc_lo
	v_sub_f32_dpp v19, v2, v2 quad_perm:[2,3,0,1] row_mask:0xf bank_mask:0xf bound_ctrl:1
	v_add_f32_dpp v2, v2, v2 quad_perm:[2,3,0,1] row_mask:0xf bank_mask:0xf bound_ctrl:1
	v_sub_f32_e32 v20, v22, v10
	v_add_f32_e32 v10, v10, v22
	v_mov_b32_dpp v22, v8 row_shl:4 row_mask:0xf bank_mask:0x5 bound_ctrl:1
	s_delay_alu instid0(VALU_DEP_1)
	v_mov_b32_dpp v22, v8 row_shr:4 row_mask:0xf bank_mask:0xa bound_ctrl:1
	v_cndmask_b32_e32 v2, v19, v2, vcc_lo
	v_cmp_eq_u32_e32 vcc_lo, 0, v21
	v_mov_b32_dpp v19, v16 row_shl:4 row_mask:0xf bank_mask:0x5 bound_ctrl:1
	v_mov_b32_dpp v21, v14 row_shl:4 row_mask:0xf bank_mask:0x5 bound_ctrl:1
	v_cndmask_b32_e32 v15, v18, v15, vcc_lo
	s_delay_alu instid0(VALU_DEP_3) | instskip(NEXT) | instid1(VALU_DEP_3)
	v_mov_b32_dpp v19, v16 row_shr:4 row_mask:0xf bank_mask:0xa bound_ctrl:1
	v_mov_b32_dpp v21, v14 row_shr:4 row_mask:0xf bank_mask:0xa bound_ctrl:1
	v_cndmask_b32_e32 v11, v23, v11, vcc_lo
	v_mov_b32_dpp v23, v17 row_shl:4 row_mask:0xf bank_mask:0x5 bound_ctrl:1
	s_delay_alu instid0(VALU_DEP_4) | instskip(NEXT) | instid1(VALU_DEP_4)
	v_sub_f32_e32 v18, v19, v16
	v_dual_add_f32 v16, v16, v19 :: v_dual_sub_f32 v19, v21, v14
	v_add_f32_e32 v14, v14, v21
	v_dual_sub_f32 v21, v22, v8 :: v_dual_add_f32 v8, v8, v22
	v_mov_b32_dpp v23, v17 row_shr:4 row_mask:0xf bank_mask:0xa bound_ctrl:1
	s_delay_alu instid0(VALU_DEP_4) | instskip(NEXT) | instid1(VALU_DEP_4)
	v_cndmask_b32_e32 v16, v18, v16, vcc_lo
	v_cndmask_b32_e32 v14, v19, v14, vcc_lo
	v_mov_b32_dpp v19, v6 row_shl:4 row_mask:0xf bank_mask:0x5 bound_ctrl:1
	v_cndmask_b32_e32 v8, v21, v8, vcc_lo
	v_mov_b32_dpp v21, v13 row_shl:4 row_mask:0xf bank_mask:0x5 bound_ctrl:1
	v_mov_b32_dpp v22, v7 row_shl:4 row_mask:0xf bank_mask:0x5 bound_ctrl:1
	s_delay_alu instid0(VALU_DEP_4) | instskip(NEXT) | instid1(VALU_DEP_3)
	v_mov_b32_dpp v19, v6 row_shr:4 row_mask:0xf bank_mask:0xa bound_ctrl:1
	v_mov_b32_dpp v21, v13 row_shr:4 row_mask:0xf bank_mask:0xa bound_ctrl:1
	v_cndmask_b32_e32 v10, v20, v10, vcc_lo
	v_mov_b32_dpp v20, v12 row_shl:4 row_mask:0xf bank_mask:0x5 bound_ctrl:1
	v_mov_b32_dpp v22, v7 row_shr:4 row_mask:0xf bank_mask:0xa bound_ctrl:1
	s_delay_alu instid0(VALU_DEP_2) | instskip(NEXT) | instid1(VALU_DEP_1)
	v_mov_b32_dpp v20, v12 row_shr:4 row_mask:0xf bank_mask:0xa bound_ctrl:1
	v_sub_f32_e32 v18, v20, v12
	v_add_f32_e32 v12, v12, v20
	v_dual_sub_f32 v20, v23, v17 :: v_dual_add_f32 v17, v17, v23
	v_mov_b32_dpp v23, v4 row_shl:4 row_mask:0xf bank_mask:0x5 bound_ctrl:1
	s_delay_alu instid0(VALU_DEP_2) | instskip(SKIP_1) | instid1(VALU_DEP_3)
	v_dual_cndmask_b32 v12, v18, v12 :: v_dual_cndmask_b32 v17, v20, v17
	v_mov_b32_dpp v20, v5 row_shl:4 row_mask:0xf bank_mask:0x5 bound_ctrl:1
	v_mov_b32_dpp v23, v4 row_shr:4 row_mask:0xf bank_mask:0xa bound_ctrl:1
	s_delay_alu instid0(VALU_DEP_2)
	v_mov_b32_dpp v20, v5 row_shr:4 row_mask:0xf bank_mask:0xa bound_ctrl:1
	v_sub_f32_e32 v18, v19, v6
	v_dual_add_f32 v6, v6, v19 :: v_dual_sub_f32 v19, v21, v13
	v_add_f32_e32 v13, v13, v21
	v_sub_f32_e32 v21, v22, v7
	v_add_f32_e32 v7, v7, v22
	v_mov_b32_dpp v22, v2 row_shl:4 row_mask:0xf bank_mask:0x5 bound_ctrl:1
	s_delay_alu instid0(VALU_DEP_4) | instskip(SKIP_1) | instid1(VALU_DEP_4)
	v_dual_cndmask_b32 v6, v18, v6 :: v_dual_cndmask_b32 v13, v19, v13
	v_mov_b32_dpp v19, v3 row_shl:4 row_mask:0xf bank_mask:0x5 bound_ctrl:1
	v_cndmask_b32_e32 v7, v21, v7, vcc_lo
	v_mov_b32_dpp v21, v1 row_shl:4 row_mask:0xf bank_mask:0x5 bound_ctrl:1
	v_dual_sub_f32 v18, v20, v5 :: v_dual_add_f32 v5, v5, v20
	v_sub_f32_e32 v20, v23, v4
	v_add_f32_e32 v4, v4, v23
	v_mov_b32_dpp v19, v3 row_shr:4 row_mask:0xf bank_mask:0xa bound_ctrl:1
	v_mov_b32_dpp v21, v1 row_shr:4 row_mask:0xf bank_mask:0xa bound_ctrl:1
	;; [unrolled: 1-line block ×3, first 2 shown]
	s_delay_alu instid0(VALU_DEP_4) | instskip(NEXT) | instid1(VALU_DEP_4)
	v_dual_cndmask_b32 v5, v18, v5 :: v_dual_cndmask_b32 v4, v20, v4
	v_sub_f32_e32 v18, v19, v3
	v_add_f32_e32 v3, v3, v19
	v_sub_f32_e32 v19, v21, v1
	v_dual_add_f32 v1, v1, v21 :: v_dual_sub_f32 v20, v22, v2
	v_add_f32_e32 v2, v2, v22
	s_delay_alu instid0(VALU_DEP_4) | instskip(SKIP_1) | instid1(VALU_DEP_4)
	v_cndmask_b32_e32 v3, v18, v3, vcc_lo
	v_sub_f32_dpp v21, v11, v11 row_ror:8 row_mask:0xf bank_mask:0xf bound_ctrl:1
	v_cndmask_b32_e32 v1, v19, v1, vcc_lo
	v_add_f32_dpp v11, v11, v11 row_ror:8 row_mask:0xf bank_mask:0xf bound_ctrl:1
	v_cndmask_b32_e32 v2, v20, v2, vcc_lo
	v_cmp_eq_u32_e32 vcc_lo, 0, v0
	v_sub_f32_dpp v20, v14, v14 row_ror:8 row_mask:0xf bank_mask:0xf bound_ctrl:1
	v_add_f32_dpp v14, v14, v14 row_ror:8 row_mask:0xf bank_mask:0xf bound_ctrl:1
	v_sub_f32_dpp v19, v16, v16 row_ror:8 row_mask:0xf bank_mask:0xf bound_ctrl:1
	v_add_f32_dpp v16, v16, v16 row_ror:8 row_mask:0xf bank_mask:0xf bound_ctrl:1
	v_cndmask_b32_e32 v0, v21, v11, vcc_lo
	v_sub_f32_dpp v11, v15, v15 row_ror:8 row_mask:0xf bank_mask:0xf bound_ctrl:1
	v_cndmask_b32_e32 v14, v20, v14, vcc_lo
	v_sub_f32_dpp v20, v13, v13 row_ror:8 row_mask:0xf bank_mask:0xf bound_ctrl:1
	v_add_f32_dpp v13, v13, v13 row_ror:8 row_mask:0xf bank_mask:0xf bound_ctrl:1
	v_add_f32_dpp v15, v15, v15 row_ror:8 row_mask:0xf bank_mask:0xf bound_ctrl:1
	v_sub_f32_dpp v21, v8, v8 row_ror:8 row_mask:0xf bank_mask:0xf bound_ctrl:1
	v_add_f32_dpp v8, v8, v8 row_ror:8 row_mask:0xf bank_mask:0xf bound_ctrl:1
	v_fma_mixlo_f16 v0, v0, s3, 0
	v_cndmask_b32_e32 v13, v20, v13, vcc_lo
	v_sub_f32_dpp v18, v10, v10 row_ror:8 row_mask:0xf bank_mask:0xf bound_ctrl:1
	v_add_f32_dpp v10, v10, v10 row_ror:8 row_mask:0xf bank_mask:0xf bound_ctrl:1
	v_cndmask_b32_e32 v11, v11, v15, vcc_lo
	v_cndmask_b32_e32 v15, v19, v16, vcc_lo
	v_sub_f32_dpp v16, v12, v12 row_ror:8 row_mask:0xf bank_mask:0xf bound_ctrl:1
	v_add_f32_dpp v12, v12, v12 row_ror:8 row_mask:0xf bank_mask:0xf bound_ctrl:1
	v_cndmask_b32_e32 v10, v18, v10, vcc_lo
	v_sub_f32_dpp v18, v17, v17 row_ror:8 row_mask:0xf bank_mask:0xf bound_ctrl:1
	v_add_f32_dpp v17, v17, v17 row_ror:8 row_mask:0xf bank_mask:0xf bound_ctrl:1
	v_sub_f32_dpp v19, v6, v6 row_ror:8 row_mask:0xf bank_mask:0xf bound_ctrl:1
	v_add_f32_dpp v6, v6, v6 row_ror:8 row_mask:0xf bank_mask:0xf bound_ctrl:1
	v_cndmask_b32_e32 v8, v21, v8, vcc_lo
	v_sub_f32_dpp v21, v7, v7 row_ror:8 row_mask:0xf bank_mask:0xf bound_ctrl:1
	v_add_f32_dpp v7, v7, v7 row_ror:8 row_mask:0xf bank_mask:0xf bound_ctrl:1
	v_cndmask_b32_e32 v12, v16, v12, vcc_lo
	v_dual_cndmask_b32 v16, v18, v17 :: v_dual_cndmask_b32 v17, v19, v6
	v_sub_f32_dpp v19, v3, v3 row_ror:8 row_mask:0xf bank_mask:0xf bound_ctrl:1
	v_add_f32_dpp v3, v3, v3 row_ror:8 row_mask:0xf bank_mask:0xf bound_ctrl:1
	v_cndmask_b32_e32 v18, v21, v7, vcc_lo
	v_sub_f32_dpp v6, v5, v5 row_ror:8 row_mask:0xf bank_mask:0xf bound_ctrl:1
	v_add_f32_dpp v5, v5, v5 row_ror:8 row_mask:0xf bank_mask:0xf bound_ctrl:1
	v_sub_f32_dpp v20, v1, v1 row_ror:8 row_mask:0xf bank_mask:0xf bound_ctrl:1
	v_add_f32_dpp v1, v1, v1 row_ror:8 row_mask:0xf bank_mask:0xf bound_ctrl:1
	v_cndmask_b32_e32 v19, v19, v3, vcc_lo
	v_sub_f32_dpp v7, v4, v4 row_ror:8 row_mask:0xf bank_mask:0xf bound_ctrl:1
	v_add_f32_dpp v4, v4, v4 row_ror:8 row_mask:0xf bank_mask:0xf bound_ctrl:1
	v_sub_f32_dpp v21, v2, v2 row_ror:8 row_mask:0xf bank_mask:0xf bound_ctrl:1
	v_add_f32_dpp v2, v2, v2 row_ror:8 row_mask:0xf bank_mask:0xf bound_ctrl:1
	v_cndmask_b32_e32 v22, v6, v5, vcc_lo
	s_delay_alu instid0(VALU_DEP_4) | instskip(SKIP_1) | instid1(VALU_DEP_4)
	v_dual_cndmask_b32 v5, v20, v1 :: v_dual_cndmask_b32 v4, v7, v4
	v_fma_mixlo_f16 v3, v12, s3, 0
	v_cndmask_b32_e32 v20, v21, v2, vcc_lo
	v_fma_mixlo_f16 v2, v14, s3, 0
	v_fma_mixlo_f16 v1, v10, s3, 0
	;; [unrolled: 1-line block ×6, first 2 shown]
	v_fma_mixhi_f16 v3, v16, s3, 0
	v_fma_mixhi_f16 v2, v8, s3, 0
	;; [unrolled: 1-line block ×8, first 2 shown]
	s_mov_b32 s3, -1
	buffer_store_b128 v[0:3], v9, s[0:3], 0 offen
	;;#ASMSTART
	s_nop 0
	;;#ASMEND
	buffer_store_b128 v[4:7], v9, s[0:3], 16 offen
	;;#ASMSTART
	s_nop 0
	;;#ASMEND
	s_nop 0
	s_sendmsg sendmsg(MSG_DEALLOC_VGPRS)
	s_endpgm
	.section	.rodata,"a",@progbits
	.p2align	6, 0x0
	.amdhsa_kernel _ZN5aiter55rope_hadamard_rotate_activation_fp4quant_inplace_kernelIDF16_Li256ELb0ELi16EEEvPT_PKS1_S4_S4_PKliiiii
		.amdhsa_group_segment_fixed_size 0
		.amdhsa_private_segment_fixed_size 0
		.amdhsa_kernarg_size 60
		.amdhsa_user_sgpr_count 15
		.amdhsa_user_sgpr_dispatch_ptr 0
		.amdhsa_user_sgpr_queue_ptr 0
		.amdhsa_user_sgpr_kernarg_segment_ptr 1
		.amdhsa_user_sgpr_dispatch_id 0
		.amdhsa_user_sgpr_private_segment_size 0
		.amdhsa_wavefront_size32 1
		.amdhsa_uses_dynamic_stack 0
		.amdhsa_enable_private_segment 0
		.amdhsa_system_sgpr_workgroup_id_x 1
		.amdhsa_system_sgpr_workgroup_id_y 0
		.amdhsa_system_sgpr_workgroup_id_z 0
		.amdhsa_system_sgpr_workgroup_info 0
		.amdhsa_system_vgpr_workitem_id 0
		.amdhsa_next_free_vgpr 42
		.amdhsa_next_free_sgpr 20
		.amdhsa_reserve_vcc 1
		.amdhsa_float_round_mode_32 0
		.amdhsa_float_round_mode_16_64 0
		.amdhsa_float_denorm_mode_32 3
		.amdhsa_float_denorm_mode_16_64 3
		.amdhsa_dx10_clamp 1
		.amdhsa_ieee_mode 1
		.amdhsa_fp16_overflow 0
		.amdhsa_workgroup_processor_mode 1
		.amdhsa_memory_ordered 1
		.amdhsa_forward_progress 0
		.amdhsa_shared_vgpr_count 0
		.amdhsa_exception_fp_ieee_invalid_op 0
		.amdhsa_exception_fp_denorm_src 0
		.amdhsa_exception_fp_ieee_div_zero 0
		.amdhsa_exception_fp_ieee_overflow 0
		.amdhsa_exception_fp_ieee_underflow 0
		.amdhsa_exception_fp_ieee_inexact 0
		.amdhsa_exception_int_div_zero 0
	.end_amdhsa_kernel
	.section	.text._ZN5aiter55rope_hadamard_rotate_activation_fp4quant_inplace_kernelIDF16_Li256ELb0ELi16EEEvPT_PKS1_S4_S4_PKliiiii,"axG",@progbits,_ZN5aiter55rope_hadamard_rotate_activation_fp4quant_inplace_kernelIDF16_Li256ELb0ELi16EEEvPT_PKS1_S4_S4_PKliiiii,comdat
.Lfunc_end27:
	.size	_ZN5aiter55rope_hadamard_rotate_activation_fp4quant_inplace_kernelIDF16_Li256ELb0ELi16EEEvPT_PKS1_S4_S4_PKliiiii, .Lfunc_end27-_ZN5aiter55rope_hadamard_rotate_activation_fp4quant_inplace_kernelIDF16_Li256ELb0ELi16EEEvPT_PKS1_S4_S4_PKliiiii
                                        ; -- End function
	.section	.AMDGPU.csdata,"",@progbits
; Kernel info:
; codeLenInByte = 2872
; NumSgprs: 22
; NumVgprs: 42
; ScratchSize: 0
; MemoryBound: 0
; FloatMode: 240
; IeeeMode: 1
; LDSByteSize: 0 bytes/workgroup (compile time only)
; SGPRBlocks: 2
; VGPRBlocks: 5
; NumSGPRsForWavesPerEU: 22
; NumVGPRsForWavesPerEU: 42
; Occupancy: 16
; WaveLimiterHint : 1
; COMPUTE_PGM_RSRC2:SCRATCH_EN: 0
; COMPUTE_PGM_RSRC2:USER_SGPR: 15
; COMPUTE_PGM_RSRC2:TRAP_HANDLER: 0
; COMPUTE_PGM_RSRC2:TGID_X_EN: 1
; COMPUTE_PGM_RSRC2:TGID_Y_EN: 0
; COMPUTE_PGM_RSRC2:TGID_Z_EN: 0
; COMPUTE_PGM_RSRC2:TIDIG_COMP_CNT: 0
	.section	.text._ZN5aiter55rope_hadamard_rotate_activation_fp4quant_inplace_kernelItLi256ELb0ELi16EEEvPT_PKS1_S4_S4_PKliiiii,"axG",@progbits,_ZN5aiter55rope_hadamard_rotate_activation_fp4quant_inplace_kernelItLi256ELb0ELi16EEEvPT_PKS1_S4_S4_PKliiiii,comdat
	.protected	_ZN5aiter55rope_hadamard_rotate_activation_fp4quant_inplace_kernelItLi256ELb0ELi16EEEvPT_PKS1_S4_S4_PKliiiii ; -- Begin function _ZN5aiter55rope_hadamard_rotate_activation_fp4quant_inplace_kernelItLi256ELb0ELi16EEEvPT_PKS1_S4_S4_PKliiiii
	.globl	_ZN5aiter55rope_hadamard_rotate_activation_fp4quant_inplace_kernelItLi256ELb0ELi16EEEvPT_PKS1_S4_S4_PKliiiii
	.p2align	8
	.type	_ZN5aiter55rope_hadamard_rotate_activation_fp4quant_inplace_kernelItLi256ELb0ELi16EEEvPT_PKS1_S4_S4_PKliiiii,@function
_ZN5aiter55rope_hadamard_rotate_activation_fp4quant_inplace_kernelItLi256ELb0ELi16EEEvPT_PKS1_S4_S4_PKliiiii: ; @_ZN5aiter55rope_hadamard_rotate_activation_fp4quant_inplace_kernelItLi256ELb0ELi16EEEvPT_PKS1_S4_S4_PKliiiii
; %bb.0:
	s_clause 0x1
	s_load_b128 s[8:11], s[0:1], 0x28
	s_load_b128 s[4:7], s[0:1], 0x0
	s_lshl_b32 s14, s15, 1
	v_lshlrev_b32_e32 v1, 5, v0
	s_mov_b32 s19, -1
	v_lshrrev_b32_e32 v35, 4, v0
	v_lshlrev_b32_e32 v6, 4, v0
                                        ; implicit-def: $vgpr25
                                        ; implicit-def: $vgpr33
                                        ; implicit-def: $vgpr24
                                        ; implicit-def: $vgpr32
                                        ; implicit-def: $vgpr23
                                        ; implicit-def: $vgpr31
                                        ; implicit-def: $vgpr22
                                        ; implicit-def: $vgpr30
                                        ; implicit-def: $vgpr29
                                        ; implicit-def: $vgpr28
                                        ; implicit-def: $vgpr27
                                        ; implicit-def: $vgpr26
	s_delay_alu instid0(VALU_DEP_2) | instskip(NEXT) | instid1(VALU_DEP_1)
	v_lshlrev_b32_e32 v7, 8, v35
	v_sub_nc_u32_e32 v34, v6, v7
	s_waitcnt lgkmcnt(0)
	s_mul_hi_i32 s3, s11, s14
	s_mul_i32 s2, s11, s14
	s_sub_i32 s12, s8, s14
	s_lshl_b64 s[2:3], s[2:3], 1
	s_sub_i32 s13, 0x100, s10
	s_min_i32 s12, s12, 2
	s_add_u32 s16, s6, s2
	s_mul_i32 s6, s12, s11
	s_addc_u32 s7, s7, s3
	s_lshl_b32 s18, s6, 1
	s_and_b32 s17, s7, 0xffff
	s_clause 0x1
	buffer_load_b128 v[2:5], v1, s[16:19], 0 offen
	buffer_load_b128 v[18:21], v1, s[16:19], 16 offen
	v_cmp_le_i32_e32 vcc_lo, s13, v34
	s_waitcnt vmcnt(1)
	v_and_b32_e32 v16, 0xffff, v2
	v_lshrrev_b32_e32 v17, 16, v2
	v_and_b32_e32 v14, 0xffff, v3
	v_lshrrev_b32_e32 v15, 16, v3
	;; [unrolled: 2-line block ×4, first 2 shown]
	s_waitcnt vmcnt(0)
	v_and_b32_e32 v8, 0xffff, v18
	v_lshrrev_b32_e32 v9, 16, v18
	v_and_b32_e32 v6, 0xffff, v19
	v_lshrrev_b32_e32 v7, 16, v19
	;; [unrolled: 2-line block ×4, first 2 shown]
                                        ; implicit-def: $vgpr21
                                        ; implicit-def: $vgpr20
                                        ; implicit-def: $vgpr19
                                        ; implicit-def: $vgpr18
	s_and_saveexec_b32 s6, vcc_lo
	s_delay_alu instid0(SALU_CYCLE_1)
	s_xor_b32 s6, exec_lo, s6
	s_cbranch_execz .LBB28_2
; %bb.1:
	v_cvt_f32_u32_e32 v13, v13
	v_add_nc_u32_e32 v18, s14, v35
	s_add_i32 s7, s8, -1
	v_cvt_f32_u32_e32 v15, v15
	s_load_b64 s[14:15], s[0:1], 0x20
	v_subrev_nc_u32_e32 v21, s13, v34
	v_cmp_gt_i32_e32 vcc_lo, s8, v18
	v_cvt_f32_u32_e32 v17, v17
	v_cvt_f32_u32_e32 v11, v11
	;; [unrolled: 1-line block ×3, first 2 shown]
	v_lshrrev_b32_e32 v22, 31, v21
	v_cndmask_b32_e32 v18, s7, v18, vcc_lo
	s_ctz_i32_b32 s7, s9
	v_cvt_f32_u32_e32 v7, v7
	v_cvt_f32_u32_e32 v16, v16
	;; [unrolled: 1-line block ×3, first 2 shown]
	v_ashrrev_i32_e32 v18, s7, v18
	s_lshr_b32 s7, s10, 31
	v_cvt_f32_u32_e32 v3, v3
	s_add_i32 s7, s10, s7
	s_load_b128 s[8:11], s[0:1], 0x10
	v_ashrrev_i32_e32 v19, 31, v18
	s_ashr_i32 s0, s7, 1
	v_cvt_f32_u32_e32 v14, v14
	s_ashr_i32 s1, s0, 31
	v_cvt_f32_u32_e32 v12, v12
	v_lshlrev_b64 v[18:19], 3, v[18:19]
	v_cvt_f32_u32_e32 v10, v10
	v_cvt_f32_u32_e32 v8, v8
	;; [unrolled: 1-line block ×5, first 2 shown]
	s_waitcnt lgkmcnt(0)
	v_add_co_u32 v18, vcc_lo, s14, v18
	v_add_co_ci_u32_e32 v19, vcc_lo, s15, v19, vcc_lo
	global_load_b64 v[18:19], v[18:19], off
	s_waitcnt vmcnt(0)
	v_mul_lo_u32 v23, v19, s0
	v_mul_lo_u32 v24, v18, s1
	v_mad_u64_u32 v[19:20], null, v18, s0, 0
	v_add_nc_u32_e32 v18, v21, v22
	s_delay_alu instid0(VALU_DEP_1) | instskip(NEXT) | instid1(VALU_DEP_3)
	v_ashrrev_i32_e32 v21, 1, v18
	v_add3_u32 v20, v20, v24, v23
	s_delay_alu instid0(VALU_DEP_2) | instskip(NEXT) | instid1(VALU_DEP_2)
	v_ashrrev_i32_e32 v22, 31, v21
	v_lshlrev_b64 v[18:19], 1, v[19:20]
	s_delay_alu instid0(VALU_DEP_2) | instskip(NEXT) | instid1(VALU_DEP_2)
	v_lshlrev_b64 v[20:21], 1, v[21:22]
	v_add_co_u32 v22, vcc_lo, s8, v18
	s_delay_alu instid0(VALU_DEP_3) | instskip(SKIP_2) | instid1(VALU_DEP_4)
	v_add_co_ci_u32_e32 v23, vcc_lo, s9, v19, vcc_lo
	v_add_co_u32 v24, vcc_lo, s10, v18
	v_add_co_ci_u32_e32 v25, vcc_lo, s11, v19, vcc_lo
	v_add_co_u32 v18, vcc_lo, v22, v20
	s_delay_alu instid0(VALU_DEP_4) | instskip(NEXT) | instid1(VALU_DEP_4)
	v_add_co_ci_u32_e32 v19, vcc_lo, v23, v21, vcc_lo
	v_add_co_u32 v22, vcc_lo, v24, v20
	s_delay_alu instid0(VALU_DEP_4)
	v_add_co_ci_u32_e32 v23, vcc_lo, v25, v21, vcc_lo
	global_load_b128 v[18:21], v[18:19], off
	global_load_b128 v[22:25], v[22:23], off
	s_waitcnt vmcnt(0)
	v_and_b32_e32 v29, 0xffff, v23
	v_lshrrev_b32_e32 v23, 16, v23
	v_and_b32_e32 v31, 0xffff, v24
	v_lshrrev_b32_e32 v24, 16, v24
	s_delay_alu instid0(VALU_DEP_3)
	v_cvt_f32_u32_e32 v37, v23
	v_and_b32_e32 v26, 0xffff, v18
	v_lshrrev_b32_e32 v18, 16, v18
	v_cvt_f32_u32_e32 v31, v31
	v_and_b32_e32 v28, 0xffff, v19
	v_lshrrev_b32_e32 v19, 16, v19
	;; [unrolled: 3-line block ×3, first 2 shown]
	v_cvt_f32_u32_e32 v34, v18
	v_cvt_f32_u32_e32 v36, v19
	v_mul_f32_e32 v18, v26, v17
	v_and_b32_e32 v30, 0xffff, v20
	v_cvt_f32_u32_e32 v27, v27
	v_cvt_f32_u32_e32 v39, v24
	v_and_b32_e32 v32, 0xffff, v21
	v_lshrrev_b32_e32 v21, 16, v21
	v_lshrrev_b32_e32 v20, 16, v20
	v_dual_fmac_f32 v18, v27, v16 :: v_dual_and_b32 v33, 0xffff, v25
	v_lshrrev_b32_e32 v25, 16, v25
	v_cvt_f32_u32_e32 v35, v22
	v_cvt_f32_u32_e32 v28, v28
	;; [unrolled: 1-line block ×3, first 2 shown]
	v_mul_f32_e32 v42, v27, v17
	v_cvt_f32_u32_e32 v29, v29
	v_mul_f32_e32 v21, v36, v11
	v_cvt_f32_u32_e32 v30, v30
	v_cvt_f32_u32_e32 v38, v20
	;; [unrolled: 1-line block ×4, first 2 shown]
	v_mul_f32_e32 v17, v35, v15
	v_mul_f32_e32 v19, v34, v15
	;; [unrolled: 1-line block ×3, first 2 shown]
	v_dual_mul_f32 v20, v28, v13 :: v_dual_mul_f32 v13, v37, v11
	v_mul_f32_e32 v11, v31, v9
	v_dual_mul_f32 v22, v30, v9 :: v_dual_mul_f32 v9, v39, v7
	v_cvt_f32_u32_e32 v32, v32
	v_mul_f32_e32 v23, v38, v7
	v_mul_f32_e32 v7, v33, v5
	v_dual_mul_f32 v25, v40, v3 :: v_dual_fmac_f32 v20, v29, v12
	s_delay_alu instid0(VALU_DEP_4) | instskip(SKIP_2) | instid1(VALU_DEP_3)
	v_dual_mul_f32 v24, v32, v5 :: v_dual_mul_f32 v5, v41, v3
	v_fma_f32 v26, v26, v16, -v42
	v_fma_f32 v27, v34, v14, -v17
	v_dual_fmac_f32 v19, v35, v14 :: v_dual_fmac_f32 v24, v33, v4
	v_fma_f32 v28, v28, v12, -v15
	v_fma_f32 v29, v36, v10, -v13
	v_fmac_f32_e32 v21, v37, v10
	v_fma_f32 v30, v30, v8, -v11
	v_fmac_f32_e32 v22, v31, v8
	;; [unrolled: 2-line block ×3, first 2 shown]
	v_fma_f32 v32, v32, v4, -v7
	v_fma_f32 v33, v40, v2, -v5
	v_fmac_f32_e32 v25, v41, v2
                                        ; implicit-def: $vgpr16
                                        ; implicit-def: $vgpr17
                                        ; implicit-def: $vgpr14
                                        ; implicit-def: $vgpr15
                                        ; implicit-def: $vgpr12
                                        ; implicit-def: $vgpr13
                                        ; implicit-def: $vgpr10
                                        ; implicit-def: $vgpr11
                                        ; implicit-def: $vgpr8
                                        ; implicit-def: $vgpr9
                                        ; implicit-def: $vgpr6
                                        ; implicit-def: $vgpr7
                                        ; implicit-def: $vgpr4
                                        ; implicit-def: $vgpr5
                                        ; implicit-def: $vgpr2
                                        ; implicit-def: $vgpr3
.LBB28_2:
	s_and_not1_saveexec_b32 s0, s6
	s_cbranch_execz .LBB28_4
; %bb.3:
	v_cvt_f32_u32_e32 v26, v16
	v_cvt_f32_u32_e32 v18, v17
	;; [unrolled: 1-line block ×16, first 2 shown]
.LBB28_4:
	s_or_b32 exec_lo, exec_lo, s0
	v_dual_add_f32 v2, v26, v18 :: v_dual_sub_f32 v5, v27, v19
	v_dual_sub_f32 v3, v26, v18 :: v_dual_add_f32 v4, v27, v19
	v_dual_add_f32 v6, v28, v20 :: v_dual_sub_f32 v9, v29, v21
	v_dual_sub_f32 v7, v28, v20 :: v_dual_add_f32 v8, v29, v21
	;; [unrolled: 2-line block ×4, first 2 shown]
	v_add_f32_e32 v18, v2, v4
	v_sub_f32_e32 v2, v2, v4
	v_add_f32_e32 v4, v3, v5
	v_sub_f32_e32 v3, v3, v5
	;; [unrolled: 2-line block ×8, first 2 shown]
	v_add_f32_e32 v17, v18, v5
	v_dual_sub_f32 v5, v18, v5 :: v_dual_add_f32 v18, v4, v8
	v_sub_f32_e32 v4, v4, v8
	v_add_f32_e32 v8, v2, v6
	v_sub_f32_e32 v2, v2, v6
	v_add_f32_e32 v6, v3, v7
	;; [unrolled: 2-line block ×8, first 2 shown]
	v_dual_sub_f32 v13, v18, v13 :: v_dual_add_f32 v18, v8, v16
	v_sub_f32_e32 v8, v8, v16
	v_add_f32_e32 v16, v6, v14
	v_sub_f32_dpp v19, v15, v15 quad_perm:[1,0,3,2] row_mask:0xf bank_mask:0xf bound_ctrl:1
	v_add_f32_dpp v15, v15, v15 quad_perm:[1,0,3,2] row_mask:0xf bank_mask:0xf bound_ctrl:1
	v_sub_f32_e32 v6, v6, v14
	v_add_f32_e32 v14, v5, v9
	v_sub_f32_e32 v5, v5, v9
	v_add_f32_e32 v9, v4, v12
	v_sub_f32_e32 v4, v4, v12
	v_sub_f32_dpp v20, v17, v17 quad_perm:[1,0,3,2] row_mask:0xf bank_mask:0xf bound_ctrl:1
	v_add_f32_dpp v17, v17, v17 quad_perm:[1,0,3,2] row_mask:0xf bank_mask:0xf bound_ctrl:1
	v_add_f32_e32 v12, v2, v10
	v_sub_f32_e32 v2, v2, v10
	v_and_b32_e32 v10, 1, v0
	v_sub_f32_dpp v21, v18, v18 quad_perm:[1,0,3,2] row_mask:0xf bank_mask:0xf bound_ctrl:1
	s_add_u32 s0, s4, s2
	s_addc_u32 s1, s5, s3
	s_lshl_b32 s2, s12, 9
	v_cmp_eq_u32_e32 vcc_lo, 0, v10
	v_add_f32_dpp v10, v18, v18 quad_perm:[1,0,3,2] row_mask:0xf bank_mask:0xf bound_ctrl:1
	v_add_f32_e32 v18, v3, v11
	v_sub_f32_e32 v3, v3, v11
	s_and_b32 s1, s1, 0xffff
	v_cndmask_b32_e32 v11, v19, v15, vcc_lo
	v_cndmask_b32_e32 v15, v20, v17, vcc_lo
	v_sub_f32_dpp v20, v9, v9 quad_perm:[1,0,3,2] row_mask:0xf bank_mask:0xf bound_ctrl:1
	v_add_f32_dpp v9, v9, v9 quad_perm:[1,0,3,2] row_mask:0xf bank_mask:0xf bound_ctrl:1
	v_sub_f32_dpp v17, v16, v16 quad_perm:[1,0,3,2] row_mask:0xf bank_mask:0xf bound_ctrl:1
	v_add_f32_dpp v16, v16, v16 quad_perm:[1,0,3,2] row_mask:0xf bank_mask:0xf bound_ctrl:1
	;; [unrolled: 2-line block ×3, first 2 shown]
	v_cndmask_b32_e32 v9, v20, v9, vcc_lo
	v_sub_f32_dpp v20, v8, v8 quad_perm:[1,0,3,2] row_mask:0xf bank_mask:0xf bound_ctrl:1
	v_add_f32_dpp v8, v8, v8 quad_perm:[1,0,3,2] row_mask:0xf bank_mask:0xf bound_ctrl:1
	v_cndmask_b32_e32 v10, v21, v10, vcc_lo
	v_sub_f32_dpp v21, v12, v12 quad_perm:[1,0,3,2] row_mask:0xf bank_mask:0xf bound_ctrl:1
	v_add_f32_dpp v12, v12, v12 quad_perm:[1,0,3,2] row_mask:0xf bank_mask:0xf bound_ctrl:1
	s_mov_b32 s3, -1
	v_cndmask_b32_e32 v8, v20, v8, vcc_lo
	v_sub_f32_dpp v20, v3, v3 quad_perm:[1,0,3,2] row_mask:0xf bank_mask:0xf bound_ctrl:1
	v_add_f32_dpp v3, v3, v3 quad_perm:[1,0,3,2] row_mask:0xf bank_mask:0xf bound_ctrl:1
	v_dual_cndmask_b32 v16, v17, v16 :: v_dual_cndmask_b32 v17, v22, v18
	v_sub_f32_dpp v18, v7, v7 quad_perm:[1,0,3,2] row_mask:0xf bank_mask:0xf bound_ctrl:1
	v_add_f32_dpp v7, v7, v7 quad_perm:[1,0,3,2] row_mask:0xf bank_mask:0xf bound_ctrl:1
	s_delay_alu instid0(VALU_DEP_4)
	v_cndmask_b32_e32 v3, v20, v3, vcc_lo
	v_sub_f32_dpp v19, v14, v14 quad_perm:[1,0,3,2] row_mask:0xf bank_mask:0xf bound_ctrl:1
	v_add_f32_dpp v14, v14, v14 quad_perm:[1,0,3,2] row_mask:0xf bank_mask:0xf bound_ctrl:1
	v_sub_f32_dpp v22, v5, v5 quad_perm:[1,0,3,2] row_mask:0xf bank_mask:0xf bound_ctrl:1
	v_add_f32_dpp v5, v5, v5 quad_perm:[1,0,3,2] row_mask:0xf bank_mask:0xf bound_ctrl:1
	v_cndmask_b32_e32 v7, v18, v7, vcc_lo
	v_sub_f32_dpp v18, v4, v4 quad_perm:[1,0,3,2] row_mask:0xf bank_mask:0xf bound_ctrl:1
	v_add_f32_dpp v4, v4, v4 quad_perm:[1,0,3,2] row_mask:0xf bank_mask:0xf bound_ctrl:1
	v_sub_f32_dpp v20, v16, v16 quad_perm:[2,3,0,1] row_mask:0xf bank_mask:0xf bound_ctrl:1
	v_cndmask_b32_e32 v5, v22, v5, vcc_lo
	v_sub_f32_dpp v22, v11, v11 quad_perm:[2,3,0,1] row_mask:0xf bank_mask:0xf bound_ctrl:1
	v_add_f32_dpp v11, v11, v11 quad_perm:[2,3,0,1] row_mask:0xf bank_mask:0xf bound_ctrl:1
	v_cndmask_b32_e32 v14, v19, v14, vcc_lo
	v_sub_f32_dpp v19, v13, v13 quad_perm:[1,0,3,2] row_mask:0xf bank_mask:0xf bound_ctrl:1
	v_add_f32_dpp v13, v13, v13 quad_perm:[1,0,3,2] row_mask:0xf bank_mask:0xf bound_ctrl:1
	v_cndmask_b32_e32 v4, v18, v4, vcc_lo
	v_sub_f32_dpp v18, v15, v15 quad_perm:[2,3,0,1] row_mask:0xf bank_mask:0xf bound_ctrl:1
	v_add_f32_dpp v15, v15, v15 quad_perm:[2,3,0,1] row_mask:0xf bank_mask:0xf bound_ctrl:1
	v_cndmask_b32_e32 v12, v21, v12, vcc_lo
	v_sub_f32_dpp v21, v6, v6 quad_perm:[1,0,3,2] row_mask:0xf bank_mask:0xf bound_ctrl:1
	v_add_f32_dpp v6, v6, v6 quad_perm:[1,0,3,2] row_mask:0xf bank_mask:0xf bound_ctrl:1
	v_cndmask_b32_e32 v13, v19, v13, vcc_lo
	v_sub_f32_dpp v19, v2, v2 quad_perm:[1,0,3,2] row_mask:0xf bank_mask:0xf bound_ctrl:1
	v_add_f32_dpp v2, v2, v2 quad_perm:[1,0,3,2] row_mask:0xf bank_mask:0xf bound_ctrl:1
	v_add_f32_dpp v16, v16, v16 quad_perm:[2,3,0,1] row_mask:0xf bank_mask:0xf bound_ctrl:1
	v_dual_cndmask_b32 v6, v21, v6 :: v_dual_and_b32 v21, 2, v0
	s_delay_alu instid0(VALU_DEP_3) | instskip(SKIP_2) | instid1(VALU_DEP_4)
	v_cndmask_b32_e32 v2, v19, v2, vcc_lo
	v_sub_f32_dpp v19, v10, v10 quad_perm:[2,3,0,1] row_mask:0xf bank_mask:0xf bound_ctrl:1
	v_add_f32_dpp v10, v10, v10 quad_perm:[2,3,0,1] row_mask:0xf bank_mask:0xf bound_ctrl:1
	v_cmp_eq_u32_e32 vcc_lo, 0, v21
	s_delay_alu instid0(VALU_DEP_2)
	v_dual_cndmask_b32 v15, v18, v15 :: v_dual_cndmask_b32 v10, v19, v10
	v_sub_f32_dpp v18, v12, v12 quad_perm:[2,3,0,1] row_mask:0xf bank_mask:0xf bound_ctrl:1
	v_add_f32_dpp v12, v12, v12 quad_perm:[2,3,0,1] row_mask:0xf bank_mask:0xf bound_ctrl:1
	v_sub_f32_dpp v19, v17, v17 quad_perm:[2,3,0,1] row_mask:0xf bank_mask:0xf bound_ctrl:1
	v_add_f32_dpp v17, v17, v17 quad_perm:[2,3,0,1] row_mask:0xf bank_mask:0xf bound_ctrl:1
	v_cndmask_b32_e32 v11, v22, v11, vcc_lo
	v_sub_f32_dpp v21, v14, v14 quad_perm:[2,3,0,1] row_mask:0xf bank_mask:0xf bound_ctrl:1
	v_cndmask_b32_e32 v12, v18, v12, vcc_lo
	v_add_f32_dpp v14, v14, v14 quad_perm:[2,3,0,1] row_mask:0xf bank_mask:0xf bound_ctrl:1
	v_cndmask_b32_e32 v17, v19, v17, vcc_lo
	v_sub_f32_dpp v18, v6, v6 quad_perm:[2,3,0,1] row_mask:0xf bank_mask:0xf bound_ctrl:1
	v_add_f32_dpp v6, v6, v6 quad_perm:[2,3,0,1] row_mask:0xf bank_mask:0xf bound_ctrl:1
	v_sub_f32_dpp v19, v5, v5 quad_perm:[2,3,0,1] row_mask:0xf bank_mask:0xf bound_ctrl:1
	v_add_f32_dpp v5, v5, v5 quad_perm:[2,3,0,1] row_mask:0xf bank_mask:0xf bound_ctrl:1
	v_cndmask_b32_e32 v16, v20, v16, vcc_lo
	v_sub_f32_dpp v20, v7, v7 quad_perm:[2,3,0,1] row_mask:0xf bank_mask:0xf bound_ctrl:1
	v_add_f32_dpp v7, v7, v7 quad_perm:[2,3,0,1] row_mask:0xf bank_mask:0xf bound_ctrl:1
	v_cndmask_b32_e32 v6, v18, v6, vcc_lo
	v_mov_b32_dpp v18, v11 row_shl:4 row_mask:0xf bank_mask:0x5 bound_ctrl:1
	v_sub_f32_dpp v22, v9, v9 quad_perm:[2,3,0,1] row_mask:0xf bank_mask:0xf bound_ctrl:1
	v_add_f32_dpp v9, v9, v9 quad_perm:[2,3,0,1] row_mask:0xf bank_mask:0xf bound_ctrl:1
	v_cndmask_b32_e32 v7, v20, v7, vcc_lo
	v_sub_f32_dpp v20, v4, v4 quad_perm:[2,3,0,1] row_mask:0xf bank_mask:0xf bound_ctrl:1
	v_add_f32_dpp v4, v4, v4 quad_perm:[2,3,0,1] row_mask:0xf bank_mask:0xf bound_ctrl:1
	v_mov_b32_dpp v18, v11 row_shr:4 row_mask:0xf bank_mask:0xa bound_ctrl:1
	v_cndmask_b32_e32 v14, v21, v14, vcc_lo
	v_sub_f32_dpp v21, v13, v13 quad_perm:[2,3,0,1] row_mask:0xf bank_mask:0xf bound_ctrl:1
	v_add_f32_dpp v13, v13, v13 quad_perm:[2,3,0,1] row_mask:0xf bank_mask:0xf bound_ctrl:1
	v_cndmask_b32_e32 v4, v20, v4, vcc_lo
	v_mov_b32_dpp v20, v15 row_shl:4 row_mask:0xf bank_mask:0x5 bound_ctrl:1
	v_cndmask_b32_e32 v9, v22, v9, vcc_lo
	v_sub_f32_dpp v22, v8, v8 quad_perm:[2,3,0,1] row_mask:0xf bank_mask:0xf bound_ctrl:1
	v_cndmask_b32_e32 v13, v21, v13, vcc_lo
	v_sub_f32_dpp v21, v2, v2 quad_perm:[2,3,0,1] row_mask:0xf bank_mask:0xf bound_ctrl:1
	v_add_f32_dpp v2, v2, v2 quad_perm:[2,3,0,1] row_mask:0xf bank_mask:0xf bound_ctrl:1
	v_add_f32_dpp v8, v8, v8 quad_perm:[2,3,0,1] row_mask:0xf bank_mask:0xf bound_ctrl:1
	v_cndmask_b32_e32 v5, v19, v5, vcc_lo
	v_sub_f32_dpp v19, v3, v3 quad_perm:[2,3,0,1] row_mask:0xf bank_mask:0xf bound_ctrl:1
	v_add_f32_dpp v3, v3, v3 quad_perm:[2,3,0,1] row_mask:0xf bank_mask:0xf bound_ctrl:1
	v_mov_b32_dpp v20, v15 row_shr:4 row_mask:0xf bank_mask:0xa bound_ctrl:1
	v_dual_cndmask_b32 v2, v21, v2 :: v_dual_and_b32 v21, 4, v0
	s_delay_alu instid0(VALU_DEP_3)
	v_dual_cndmask_b32 v8, v22, v8 :: v_dual_cndmask_b32 v3, v19, v3
	v_mov_b32_dpp v22, v10 row_shl:4 row_mask:0xf bank_mask:0x5 bound_ctrl:1
	v_sub_f32_e32 v23, v18, v11
	v_add_f32_e32 v11, v11, v18
	v_cmp_eq_u32_e32 vcc_lo, 0, v21
	v_mov_b32_dpp v21, v14 row_shl:4 row_mask:0xf bank_mask:0x5 bound_ctrl:1
	v_mov_b32_dpp v22, v10 row_shr:4 row_mask:0xf bank_mask:0xa bound_ctrl:1
	v_mov_b32_dpp v19, v16 row_shl:4 row_mask:0xf bank_mask:0x5 bound_ctrl:1
	v_dual_cndmask_b32 v11, v23, v11 :: v_dual_and_b32 v0, 8, v0
	v_mov_b32_dpp v23, v17 row_shl:4 row_mask:0xf bank_mask:0x5 bound_ctrl:1
	v_mov_b32_dpp v21, v14 row_shr:4 row_mask:0xf bank_mask:0xa bound_ctrl:1
	v_dual_sub_f32 v18, v20, v15 :: v_dual_add_f32 v15, v15, v20
	v_sub_f32_e32 v20, v22, v10
	s_delay_alu instid0(VALU_DEP_4) | instskip(SKIP_4) | instid1(VALU_DEP_3)
	v_mov_b32_dpp v23, v17 row_shr:4 row_mask:0xf bank_mask:0xa bound_ctrl:1
	v_add_f32_e32 v10, v10, v22
	v_mov_b32_dpp v22, v9 row_shl:4 row_mask:0xf bank_mask:0x5 bound_ctrl:1
	v_mov_b32_dpp v19, v16 row_shr:4 row_mask:0xf bank_mask:0xa bound_ctrl:1
	v_cndmask_b32_e32 v15, v18, v15, vcc_lo
	v_mov_b32_dpp v22, v9 row_shr:4 row_mask:0xf bank_mask:0xa bound_ctrl:1
	s_delay_alu instid0(VALU_DEP_3) | instskip(SKIP_2) | instid1(VALU_DEP_4)
	v_sub_f32_e32 v18, v19, v16
	v_dual_add_f32 v16, v16, v19 :: v_dual_sub_f32 v19, v21, v14
	v_add_f32_e32 v14, v14, v21
	v_sub_f32_e32 v21, v22, v9
	v_add_f32_e32 v9, v9, v22
	v_mov_b32_dpp v22, v8 row_shl:4 row_mask:0xf bank_mask:0x5 bound_ctrl:1
	s_delay_alu instid0(VALU_DEP_2) | instskip(SKIP_1) | instid1(VALU_DEP_3)
	v_dual_cndmask_b32 v16, v18, v16 :: v_dual_cndmask_b32 v9, v21, v9
	v_mov_b32_dpp v21, v13 row_shl:4 row_mask:0xf bank_mask:0x5 bound_ctrl:1
	v_mov_b32_dpp v22, v8 row_shr:4 row_mask:0xf bank_mask:0xa bound_ctrl:1
	s_delay_alu instid0(VALU_DEP_2) | instskip(SKIP_2) | instid1(VALU_DEP_1)
	v_mov_b32_dpp v21, v13 row_shr:4 row_mask:0xf bank_mask:0xa bound_ctrl:1
	v_cndmask_b32_e32 v14, v19, v14, vcc_lo
	v_mov_b32_dpp v19, v7 row_shl:4 row_mask:0xf bank_mask:0x5 bound_ctrl:1
	v_mov_b32_dpp v19, v7 row_shr:4 row_mask:0xf bank_mask:0xa bound_ctrl:1
	v_cndmask_b32_e32 v10, v20, v10, vcc_lo
	v_mov_b32_dpp v20, v12 row_shl:4 row_mask:0xf bank_mask:0x5 bound_ctrl:1
	s_delay_alu instid0(VALU_DEP_1) | instskip(NEXT) | instid1(VALU_DEP_1)
	v_mov_b32_dpp v20, v12 row_shr:4 row_mask:0xf bank_mask:0xa bound_ctrl:1
	v_sub_f32_e32 v18, v20, v12
	v_add_f32_e32 v12, v12, v20
	v_dual_sub_f32 v20, v23, v17 :: v_dual_add_f32 v17, v17, v23
	v_mov_b32_dpp v23, v5 row_shl:4 row_mask:0xf bank_mask:0x5 bound_ctrl:1
	s_delay_alu instid0(VALU_DEP_3)
	v_cndmask_b32_e32 v12, v18, v12, vcc_lo
	v_sub_f32_e32 v18, v19, v7
	v_add_f32_e32 v7, v7, v19
	v_sub_f32_e32 v19, v21, v13
	v_add_f32_e32 v13, v13, v21
	v_sub_f32_e32 v21, v22, v8
	v_cndmask_b32_e32 v17, v20, v17, vcc_lo
	v_mov_b32_dpp v20, v6 row_shl:4 row_mask:0xf bank_mask:0x5 bound_ctrl:1
	v_add_f32_e32 v8, v8, v22
	v_mov_b32_dpp v22, v3 row_shl:4 row_mask:0xf bank_mask:0x5 bound_ctrl:1
	v_cndmask_b32_e32 v13, v19, v13, vcc_lo
	v_mov_b32_dpp v23, v5 row_shr:4 row_mask:0xf bank_mask:0xa bound_ctrl:1
	v_mov_b32_dpp v20, v6 row_shr:4 row_mask:0xf bank_mask:0xa bound_ctrl:1
	v_mov_b32_dpp v19, v4 row_shl:4 row_mask:0xf bank_mask:0x5 bound_ctrl:1
	v_mov_b32_dpp v22, v3 row_shr:4 row_mask:0xf bank_mask:0xa bound_ctrl:1
	v_cndmask_b32_e32 v8, v21, v8, vcc_lo
	v_mov_b32_dpp v21, v2 row_shl:4 row_mask:0xf bank_mask:0x5 bound_ctrl:1
	v_dual_cndmask_b32 v7, v18, v7 :: v_dual_sub_f32 v18, v20, v6
	v_mov_b32_dpp v19, v4 row_shr:4 row_mask:0xf bank_mask:0xa bound_ctrl:1
	s_delay_alu instid0(VALU_DEP_3) | instskip(SKIP_2) | instid1(VALU_DEP_1)
	v_mov_b32_dpp v21, v2 row_shr:4 row_mask:0xf bank_mask:0xa bound_ctrl:1
	v_add_f32_e32 v6, v6, v20
	v_dual_sub_f32 v20, v23, v5 :: v_dual_add_f32 v5, v5, v23
	v_dual_cndmask_b32 v5, v20, v5 :: v_dual_sub_f32 v20, v22, v3
	v_add_f32_e32 v3, v3, v22
	s_delay_alu instid0(VALU_DEP_4)
	v_cndmask_b32_e32 v6, v18, v6, vcc_lo
	v_sub_f32_e32 v18, v19, v4
	v_dual_add_f32 v4, v4, v19 :: v_dual_sub_f32 v19, v21, v2
	v_add_f32_e32 v2, v2, v21
	v_sub_f32_dpp v21, v11, v11 row_ror:8 row_mask:0xf bank_mask:0xf bound_ctrl:1
	v_add_f32_dpp v11, v11, v11 row_ror:8 row_mask:0xf bank_mask:0xf bound_ctrl:1
	s_delay_alu instid0(VALU_DEP_4) | instskip(NEXT) | instid1(VALU_DEP_4)
	v_dual_cndmask_b32 v4, v18, v4 :: v_dual_cndmask_b32 v3, v20, v3
	v_cndmask_b32_e32 v2, v19, v2, vcc_lo
	v_cmp_eq_u32_e32 vcc_lo, 0, v0
	v_sub_f32_dpp v19, v16, v16 row_ror:8 row_mask:0xf bank_mask:0xf bound_ctrl:1
	v_add_f32_dpp v16, v16, v16 row_ror:8 row_mask:0xf bank_mask:0xf bound_ctrl:1
	v_cndmask_b32_e32 v0, v21, v11, vcc_lo
	v_sub_f32_dpp v21, v9, v9 row_ror:8 row_mask:0xf bank_mask:0xf bound_ctrl:1
	v_add_f32_dpp v9, v9, v9 row_ror:8 row_mask:0xf bank_mask:0xf bound_ctrl:1
	v_sub_f32_dpp v11, v15, v15 row_ror:8 row_mask:0xf bank_mask:0xf bound_ctrl:1
	v_add_f32_dpp v15, v15, v15 row_ror:8 row_mask:0xf bank_mask:0xf bound_ctrl:1
	s_delay_alu instid0(VALU_DEP_3)
	v_cndmask_b32_e32 v9, v21, v9, vcc_lo
	v_sub_f32_dpp v21, v8, v8 row_ror:8 row_mask:0xf bank_mask:0xf bound_ctrl:1
	v_add_f32_dpp v8, v8, v8 row_ror:8 row_mask:0xf bank_mask:0xf bound_ctrl:1
	v_sub_f32_dpp v18, v10, v10 row_ror:8 row_mask:0xf bank_mask:0xf bound_ctrl:1
	v_add_f32_dpp v10, v10, v10 row_ror:8 row_mask:0xf bank_mask:0xf bound_ctrl:1
	v_mul_f32_e32 v9, 0x3d800000, v9
	v_sub_f32_dpp v20, v14, v14 row_ror:8 row_mask:0xf bank_mask:0xf bound_ctrl:1
	v_add_f32_dpp v14, v14, v14 row_ror:8 row_mask:0xf bank_mask:0xf bound_ctrl:1
	v_cndmask_b32_e32 v11, v11, v15, vcc_lo
	v_cndmask_b32_e32 v15, v19, v16, vcc_lo
	v_sub_f32_dpp v19, v7, v7 row_ror:8 row_mask:0xf bank_mask:0xf bound_ctrl:1
	v_add_f32_dpp v7, v7, v7 row_ror:8 row_mask:0xf bank_mask:0xf bound_ctrl:1
	v_cndmask_b32_e32 v8, v21, v8, vcc_lo
	v_cndmask_b32_e32 v14, v20, v14, vcc_lo
	v_sub_f32_dpp v20, v13, v13 row_ror:8 row_mask:0xf bank_mask:0xf bound_ctrl:1
	v_add_f32_dpp v13, v13, v13 row_ror:8 row_mask:0xf bank_mask:0xf bound_ctrl:1
	v_sub_f32_dpp v16, v12, v12 row_ror:8 row_mask:0xf bank_mask:0xf bound_ctrl:1
	v_add_f32_dpp v12, v12, v12 row_ror:8 row_mask:0xf bank_mask:0xf bound_ctrl:1
	v_dual_cndmask_b32 v7, v19, v7 :: v_dual_cndmask_b32 v10, v18, v10
	v_sub_f32_dpp v18, v17, v17 row_ror:8 row_mask:0xf bank_mask:0xf bound_ctrl:1
	v_add_f32_dpp v17, v17, v17 row_ror:8 row_mask:0xf bank_mask:0xf bound_ctrl:1
	v_cndmask_b32_e32 v13, v20, v13, vcc_lo
	v_mul_f32_e32 v15, 0x3d800000, v15
	v_sub_f32_dpp v20, v2, v2 row_ror:8 row_mask:0xf bank_mask:0xf bound_ctrl:1
	v_add_f32_dpp v2, v2, v2 row_ror:8 row_mask:0xf bank_mask:0xf bound_ctrl:1
	v_sub_f32_dpp v21, v3, v3 row_ror:8 row_mask:0xf bank_mask:0xf bound_ctrl:1
	v_add_f32_dpp v3, v3, v3 row_ror:8 row_mask:0xf bank_mask:0xf bound_ctrl:1
	v_mul_f32_e32 v11, 0x3d800000, v11
	v_sub_f32_dpp v19, v4, v4 row_ror:8 row_mask:0xf bank_mask:0xf bound_ctrl:1
	v_add_f32_dpp v4, v4, v4 row_ror:8 row_mask:0xf bank_mask:0xf bound_ctrl:1
	v_cndmask_b32_e32 v2, v20, v2, vcc_lo
	v_cndmask_b32_e32 v12, v16, v12, vcc_lo
	;; [unrolled: 1-line block ×3, first 2 shown]
	v_sub_f32_dpp v17, v6, v6 row_ror:8 row_mask:0xf bank_mask:0xf bound_ctrl:1
	v_add_f32_dpp v6, v6, v6 row_ror:8 row_mask:0xf bank_mask:0xf bound_ctrl:1
	v_sub_f32_dpp v18, v5, v5 row_ror:8 row_mask:0xf bank_mask:0xf bound_ctrl:1
	v_add_f32_dpp v5, v5, v5 row_ror:8 row_mask:0xf bank_mask:0xf bound_ctrl:1
	v_dual_cndmask_b32 v4, v19, v4 :: v_dual_mul_f32 v19, 0x3d800000, v2
	s_delay_alu instid0(VALU_DEP_4) | instskip(SKIP_1) | instid1(VALU_DEP_4)
	v_cndmask_b32_e32 v6, v17, v6, vcc_lo
	v_cndmask_b32_e32 v3, v21, v3, vcc_lo
	v_dual_cndmask_b32 v5, v18, v5 :: v_dual_mul_f32 v12, 0x3d800000, v12
	v_dual_mul_f32 v16, 0x3d800000, v16 :: v_dual_mul_f32 v17, 0x3d800000, v7
	v_dual_mul_f32 v10, 0x3d800000, v10 :: v_dual_mul_f32 v13, 0x3d800000, v13
	v_mul_f32_e32 v0, 0x3d800000, v0
	v_dual_mul_f32 v7, 0x3d800000, v8 :: v_dual_mul_f32 v14, 0x3d800000, v14
	v_mul_f32_e32 v6, 0x3d800000, v6
	v_mul_f32_e32 v8, 0x3d800000, v5
	;; [unrolled: 1-line block ×4, first 2 shown]
	v_perm_b32 v5, v16, v12, 0x7060302
	v_perm_b32 v4, v9, v14, 0x7060302
	;; [unrolled: 1-line block ×8, first 2 shown]
	buffer_store_b128 v[2:5], v1, s[0:3], 0 offen
	;;#ASMSTART
	s_nop 0
	;;#ASMEND
	buffer_store_b128 v[6:9], v1, s[0:3], 16 offen
	;;#ASMSTART
	s_nop 0
	;;#ASMEND
	s_nop 0
	s_sendmsg sendmsg(MSG_DEALLOC_VGPRS)
	s_endpgm
	.section	.rodata,"a",@progbits
	.p2align	6, 0x0
	.amdhsa_kernel _ZN5aiter55rope_hadamard_rotate_activation_fp4quant_inplace_kernelItLi256ELb0ELi16EEEvPT_PKS1_S4_S4_PKliiiii
		.amdhsa_group_segment_fixed_size 0
		.amdhsa_private_segment_fixed_size 0
		.amdhsa_kernarg_size 60
		.amdhsa_user_sgpr_count 15
		.amdhsa_user_sgpr_dispatch_ptr 0
		.amdhsa_user_sgpr_queue_ptr 0
		.amdhsa_user_sgpr_kernarg_segment_ptr 1
		.amdhsa_user_sgpr_dispatch_id 0
		.amdhsa_user_sgpr_private_segment_size 0
		.amdhsa_wavefront_size32 1
		.amdhsa_uses_dynamic_stack 0
		.amdhsa_enable_private_segment 0
		.amdhsa_system_sgpr_workgroup_id_x 1
		.amdhsa_system_sgpr_workgroup_id_y 0
		.amdhsa_system_sgpr_workgroup_id_z 0
		.amdhsa_system_sgpr_workgroup_info 0
		.amdhsa_system_vgpr_workitem_id 0
		.amdhsa_next_free_vgpr 43
		.amdhsa_next_free_sgpr 20
		.amdhsa_reserve_vcc 1
		.amdhsa_float_round_mode_32 0
		.amdhsa_float_round_mode_16_64 0
		.amdhsa_float_denorm_mode_32 3
		.amdhsa_float_denorm_mode_16_64 3
		.amdhsa_dx10_clamp 1
		.amdhsa_ieee_mode 1
		.amdhsa_fp16_overflow 0
		.amdhsa_workgroup_processor_mode 1
		.amdhsa_memory_ordered 1
		.amdhsa_forward_progress 0
		.amdhsa_shared_vgpr_count 0
		.amdhsa_exception_fp_ieee_invalid_op 0
		.amdhsa_exception_fp_denorm_src 0
		.amdhsa_exception_fp_ieee_div_zero 0
		.amdhsa_exception_fp_ieee_overflow 0
		.amdhsa_exception_fp_ieee_underflow 0
		.amdhsa_exception_fp_ieee_inexact 0
		.amdhsa_exception_int_div_zero 0
	.end_amdhsa_kernel
	.section	.text._ZN5aiter55rope_hadamard_rotate_activation_fp4quant_inplace_kernelItLi256ELb0ELi16EEEvPT_PKS1_S4_S4_PKliiiii,"axG",@progbits,_ZN5aiter55rope_hadamard_rotate_activation_fp4quant_inplace_kernelItLi256ELb0ELi16EEEvPT_PKS1_S4_S4_PKliiiii,comdat
.Lfunc_end28:
	.size	_ZN5aiter55rope_hadamard_rotate_activation_fp4quant_inplace_kernelItLi256ELb0ELi16EEEvPT_PKS1_S4_S4_PKliiiii, .Lfunc_end28-_ZN5aiter55rope_hadamard_rotate_activation_fp4quant_inplace_kernelItLi256ELb0ELi16EEEvPT_PKS1_S4_S4_PKliiiii
                                        ; -- End function
	.section	.AMDGPU.csdata,"",@progbits
; Kernel info:
; codeLenInByte = 3036
; NumSgprs: 22
; NumVgprs: 43
; ScratchSize: 0
; MemoryBound: 0
; FloatMode: 240
; IeeeMode: 1
; LDSByteSize: 0 bytes/workgroup (compile time only)
; SGPRBlocks: 2
; VGPRBlocks: 5
; NumSGPRsForWavesPerEU: 22
; NumVGPRsForWavesPerEU: 43
; Occupancy: 16
; WaveLimiterHint : 1
; COMPUTE_PGM_RSRC2:SCRATCH_EN: 0
; COMPUTE_PGM_RSRC2:USER_SGPR: 15
; COMPUTE_PGM_RSRC2:TRAP_HANDLER: 0
; COMPUTE_PGM_RSRC2:TGID_X_EN: 1
; COMPUTE_PGM_RSRC2:TGID_Y_EN: 0
; COMPUTE_PGM_RSRC2:TGID_Z_EN: 0
; COMPUTE_PGM_RSRC2:TIDIG_COMP_CNT: 0
	.section	.text._ZN5aiter55rope_hadamard_rotate_activation_fp4quant_inplace_kernelIDF16_Li512ELb0ELi16EEEvPT_PKS1_S4_S4_PKliiiii,"axG",@progbits,_ZN5aiter55rope_hadamard_rotate_activation_fp4quant_inplace_kernelIDF16_Li512ELb0ELi16EEEvPT_PKS1_S4_S4_PKliiiii,comdat
	.protected	_ZN5aiter55rope_hadamard_rotate_activation_fp4quant_inplace_kernelIDF16_Li512ELb0ELi16EEEvPT_PKS1_S4_S4_PKliiiii ; -- Begin function _ZN5aiter55rope_hadamard_rotate_activation_fp4quant_inplace_kernelIDF16_Li512ELb0ELi16EEEvPT_PKS1_S4_S4_PKliiiii
	.globl	_ZN5aiter55rope_hadamard_rotate_activation_fp4quant_inplace_kernelIDF16_Li512ELb0ELi16EEEvPT_PKS1_S4_S4_PKliiiii
	.p2align	8
	.type	_ZN5aiter55rope_hadamard_rotate_activation_fp4quant_inplace_kernelIDF16_Li512ELb0ELi16EEEvPT_PKS1_S4_S4_PKliiiii,@function
_ZN5aiter55rope_hadamard_rotate_activation_fp4quant_inplace_kernelIDF16_Li512ELb0ELi16EEEvPT_PKS1_S4_S4_PKliiiii: ; @_ZN5aiter55rope_hadamard_rotate_activation_fp4quant_inplace_kernelIDF16_Li512ELb0ELi16EEEvPT_PKS1_S4_S4_PKliiiii
; %bb.0:
	s_clause 0x1
	s_load_b128 s[8:11], s[0:1], 0x28
	s_load_b128 s[4:7], s[0:1], 0x0
	v_lshlrev_b32_e32 v9, 5, v0
	s_mov_b32 s19, -1
	v_lshrrev_b32_e32 v35, 5, v0
	v_lshlrev_b32_e32 v10, 4, v0
                                        ; implicit-def: $vgpr26
                                        ; implicit-def: $vgpr27
                                        ; implicit-def: $vgpr21
                                        ; implicit-def: $vgpr25
                                        ; implicit-def: $vgpr28
                                        ; implicit-def: $vgpr29
                                        ; implicit-def: $vgpr20
                                        ; implicit-def: $vgpr24
                                        ; implicit-def: $vgpr30
                                        ; implicit-def: $vgpr31
                                        ; implicit-def: $vgpr19
                                        ; implicit-def: $vgpr23
                                        ; implicit-def: $vgpr32
                                        ; implicit-def: $vgpr33
                                        ; implicit-def: $vgpr18
                                        ; implicit-def: $vgpr22
	s_delay_alu instid0(VALU_DEP_2) | instskip(NEXT) | instid1(VALU_DEP_1)
	v_lshlrev_b32_e32 v11, 9, v35
	v_sub_nc_u32_e32 v34, v10, v11
	s_waitcnt lgkmcnt(0)
	s_mul_hi_i32 s3, s11, s15
	s_mul_i32 s2, s11, s15
	s_sub_i32 s12, s8, s15
	s_lshl_b64 s[2:3], s[2:3], 1
	s_sub_i32 s13, 0x200, s10
	s_min_i32 s12, s12, 1
	s_add_u32 s16, s6, s2
	s_mul_i32 s6, s12, s11
	s_addc_u32 s7, s7, s3
	s_lshl_b32 s18, s6, 1
	s_and_b32 s17, s7, 0xffff
	s_clause 0x1
	buffer_load_b128 v[5:8], v9, s[16:19], 0 offen
	buffer_load_b128 v[1:4], v9, s[16:19], 16 offen
	v_cmp_le_i32_e32 vcc_lo, s13, v34
	s_waitcnt vmcnt(1)
	v_lshrrev_b32_e32 v17, 16, v5
	v_lshrrev_b32_e32 v16, 16, v6
	;; [unrolled: 1-line block ×4, first 2 shown]
	s_waitcnt vmcnt(0)
	v_lshrrev_b32_e32 v13, 16, v1
	v_lshrrev_b32_e32 v12, 16, v2
	;; [unrolled: 1-line block ×4, first 2 shown]
	s_and_saveexec_b32 s6, vcc_lo
	s_delay_alu instid0(SALU_CYCLE_1)
	s_xor_b32 s6, exec_lo, s6
	s_cbranch_execz .LBB29_2
; %bb.1:
	v_cvt_f32_f16_e32 v17, v17
	v_add_nc_u32_e32 v18, s15, v35
	s_add_i32 s7, s8, -1
	v_cvt_f32_f16_e32 v15, v15
	s_load_b64 s[14:15], s[0:1], 0x20
	v_subrev_nc_u32_e32 v21, s13, v34
	v_cmp_gt_i32_e32 vcc_lo, s8, v18
	v_cvt_f32_f16_e32 v13, v13
	v_cvt_f32_f16_e32 v11, v11
	;; [unrolled: 1-line block ×3, first 2 shown]
	v_lshrrev_b32_e32 v22, 31, v21
	v_cndmask_b32_e32 v18, s7, v18, vcc_lo
	s_ctz_i32_b32 s7, s9
	v_cvt_f32_f16_e32 v14, v14
	v_cvt_f32_f16_e32 v12, v12
	;; [unrolled: 1-line block ×3, first 2 shown]
	v_ashrrev_i32_e32 v18, s7, v18
	s_lshr_b32 s7, s10, 31
	s_delay_alu instid0(SALU_CYCLE_1) | instskip(SKIP_1) | instid1(VALU_DEP_1)
	s_add_i32 s7, s10, s7
	s_load_b128 s[8:11], s[0:1], 0x10
	v_ashrrev_i32_e32 v19, 31, v18
	s_ashr_i32 s0, s7, 1
	s_delay_alu instid0(SALU_CYCLE_1) | instskip(NEXT) | instid1(VALU_DEP_1)
	s_ashr_i32 s1, s0, 31
	v_lshlrev_b64 v[18:19], 3, v[18:19]
	s_waitcnt lgkmcnt(0)
	s_delay_alu instid0(VALU_DEP_1) | instskip(NEXT) | instid1(VALU_DEP_2)
	v_add_co_u32 v18, vcc_lo, s14, v18
	v_add_co_ci_u32_e32 v19, vcc_lo, s15, v19, vcc_lo
	global_load_b64 v[18:19], v[18:19], off
	s_waitcnt vmcnt(0)
	v_mul_lo_u32 v23, v19, s0
	v_mul_lo_u32 v24, v18, s1
	v_mad_u64_u32 v[19:20], null, v18, s0, 0
	v_add_nc_u32_e32 v18, v21, v22
	s_delay_alu instid0(VALU_DEP_1) | instskip(NEXT) | instid1(VALU_DEP_3)
	v_ashrrev_i32_e32 v21, 1, v18
	v_add3_u32 v20, v20, v24, v23
	s_delay_alu instid0(VALU_DEP_2) | instskip(NEXT) | instid1(VALU_DEP_2)
	v_ashrrev_i32_e32 v22, 31, v21
	v_lshlrev_b64 v[18:19], 1, v[19:20]
	s_delay_alu instid0(VALU_DEP_2) | instskip(NEXT) | instid1(VALU_DEP_2)
	v_lshlrev_b64 v[20:21], 1, v[21:22]
	v_add_co_u32 v22, vcc_lo, s8, v18
	s_delay_alu instid0(VALU_DEP_3) | instskip(SKIP_2) | instid1(VALU_DEP_4)
	v_add_co_ci_u32_e32 v23, vcc_lo, s9, v19, vcc_lo
	v_add_co_u32 v24, vcc_lo, s10, v18
	v_add_co_ci_u32_e32 v25, vcc_lo, s11, v19, vcc_lo
	v_add_co_u32 v18, vcc_lo, v22, v20
	s_delay_alu instid0(VALU_DEP_4) | instskip(NEXT) | instid1(VALU_DEP_4)
	v_add_co_ci_u32_e32 v19, vcc_lo, v23, v21, vcc_lo
	v_add_co_u32 v20, vcc_lo, v24, v20
	s_delay_alu instid0(VALU_DEP_4)
	v_add_co_ci_u32_e32 v21, vcc_lo, v25, v21, vcc_lo
	global_load_b128 v[33:36], v[18:19], off
	global_load_b128 v[37:40], v[20:21], off
	s_waitcnt vmcnt(1)
	v_cvt_f32_f16_e32 v18, v33
	s_waitcnt vmcnt(0)
	v_cvt_f32_f16_e32 v19, v37
	v_lshrrev_b32_e32 v20, 16, v33
	v_lshrrev_b32_e32 v21, 16, v37
	v_cvt_f32_f16_e32 v22, v34
	v_cvt_f32_f16_e32 v23, v38
	v_lshrrev_b32_e32 v24, 16, v34
	v_lshrrev_b32_e32 v25, 16, v38
	v_cvt_f32_f16_e32 v26, v35
	v_cvt_f32_f16_e32 v27, v39
	v_lshrrev_b32_e32 v28, 16, v35
	v_lshrrev_b32_e32 v29, 16, v39
	v_cvt_f32_f16_e32 v30, v36
	v_cvt_f32_f16_e32 v31, v40
	v_lshrrev_b32_e32 v32, 16, v36
	v_lshrrev_b32_e32 v41, 16, v40
	v_mul_f32_e32 v19, v19, v17
	v_cvt_f32_f16_e32 v20, v20
	v_mul_f32_e32 v17, v18, v17
	v_cvt_f32_f16_e32 v21, v21
	v_mul_f32_e32 v23, v23, v15
	v_mul_f32_e32 v15, v22, v15
	v_cvt_f32_f16_e32 v24, v24
	v_cvt_f32_f16_e32 v25, v25
	v_mul_f32_e32 v27, v27, v13
	v_mul_f32_e32 v13, v26, v13
	v_cvt_f32_f16_e32 v26, v28
	;; [unrolled: 4-line block ×3, first 2 shown]
	v_cvt_f32_f16_e32 v31, v41
	v_fma_mix_f32 v22, v33, v5, -v19 op_sel_hi:[1,1,0]
	v_fma_mix_f32 v18, v37, v5, v17 op_sel_hi:[1,1,0]
	v_mul_f32_e32 v5, v21, v16
	v_mul_f32_e32 v16, v20, v16
	v_fma_mix_f32 v23, v34, v7, -v23 op_sel_hi:[1,1,0]
	v_fma_mix_f32 v19, v38, v7, v15 op_sel_hi:[1,1,0]
	v_mul_f32_e32 v7, v25, v14
	v_mul_f32_e32 v14, v24, v14
	;; [unrolled: 4-line block ×4, first 2 shown]
	v_fma_mix_f32 v33, v33, v6, -v5 op_sel:[1,0,0] op_sel_hi:[1,1,0]
	v_fma_mix_f32 v32, v37, v6, v16 op_sel:[1,0,0] op_sel_hi:[1,1,0]
	v_fma_mix_f32 v31, v34, v8, -v7 op_sel:[1,0,0] op_sel_hi:[1,1,0]
	v_fma_mix_f32 v30, v38, v8, v14 op_sel:[1,0,0] op_sel_hi:[1,1,0]
	;; [unrolled: 2-line block ×4, first 2 shown]
                                        ; implicit-def: $vgpr5_vgpr6_vgpr7_vgpr8
                                        ; implicit-def: $vgpr1_vgpr2_vgpr3_vgpr4
                                        ; implicit-def: $vgpr17
                                        ; implicit-def: $vgpr16
                                        ; implicit-def: $vgpr15
                                        ; implicit-def: $vgpr14
                                        ; implicit-def: $vgpr13
                                        ; implicit-def: $vgpr12
                                        ; implicit-def: $vgpr11
                                        ; implicit-def: $vgpr10
.LBB29_2:
	s_and_not1_saveexec_b32 s0, s6
	s_cbranch_execz .LBB29_4
; %bb.3:
	v_cvt_f32_f16_e32 v18, v17
	v_cvt_f32_f16_e32 v22, v5
	;; [unrolled: 1-line block ×16, first 2 shown]
.LBB29_4:
	s_or_b32 exec_lo, exec_lo, s0
	v_dual_add_f32 v1, v22, v18 :: v_dual_sub_f32 v4, v33, v32
	v_dual_sub_f32 v2, v22, v18 :: v_dual_add_f32 v3, v33, v32
	v_dual_add_f32 v5, v23, v19 :: v_dual_add_f32 v10, v24, v20
	v_dual_sub_f32 v6, v23, v19 :: v_dual_sub_f32 v11, v24, v20
	v_dual_add_f32 v7, v31, v30 :: v_dual_add_f32 v12, v29, v28
	v_dual_sub_f32 v8, v31, v30 :: v_dual_sub_f32 v13, v29, v28
	v_dual_add_f32 v14, v25, v21 :: v_dual_sub_f32 v17, v27, v26
	v_dual_sub_f32 v15, v25, v21 :: v_dual_add_f32 v16, v27, v26
	v_add_f32_e32 v18, v1, v3
	v_sub_f32_e32 v1, v1, v3
	v_add_f32_e32 v3, v2, v4
	v_sub_f32_e32 v2, v2, v4
	;; [unrolled: 2-line block ×16, first 2 shown]
	v_add_f32_e32 v15, v17, v6
	v_dual_sub_f32 v6, v17, v6 :: v_dual_add_f32 v17, v18, v13
	v_dual_sub_f32 v13, v18, v13 :: v_dual_add_f32 v18, v7, v16
	v_sub_f32_e32 v7, v7, v16
	s_delay_alu instid0(VALU_DEP_4)
	v_sub_f32_dpp v19, v15, v15 quad_perm:[1,0,3,2] row_mask:0xf bank_mask:0xf bound_ctrl:1
	v_add_f32_dpp v15, v15, v15 quad_perm:[1,0,3,2] row_mask:0xf bank_mask:0xf bound_ctrl:1
	v_add_f32_e32 v16, v5, v14
	v_dual_sub_f32 v5, v5, v14 :: v_dual_add_f32 v14, v4, v8
	v_sub_f32_e32 v4, v4, v8
	v_sub_f32_dpp v20, v17, v17 quad_perm:[1,0,3,2] row_mask:0xf bank_mask:0xf bound_ctrl:1
	v_add_f32_dpp v17, v17, v17 quad_perm:[1,0,3,2] row_mask:0xf bank_mask:0xf bound_ctrl:1
	v_add_f32_e32 v8, v3, v12
	v_dual_sub_f32 v3, v3, v12 :: v_dual_add_f32 v12, v1, v10
	v_dual_sub_f32 v1, v1, v10 :: v_dual_and_b32 v10, 1, v0
	v_sub_f32_dpp v21, v18, v18 quad_perm:[1,0,3,2] row_mask:0xf bank_mask:0xf bound_ctrl:1
	s_mov_b32 s1, 0x76543210
	s_delay_alu instid0(VALU_DEP_2)
	v_cmp_eq_u32_e32 vcc_lo, 0, v10
	v_add_f32_dpp v10, v18, v18 quad_perm:[1,0,3,2] row_mask:0xf bank_mask:0xf bound_ctrl:1
	v_add_f32_e32 v18, v2, v11
	v_sub_f32_e32 v2, v2, v11
	v_cndmask_b32_e32 v11, v19, v15, vcc_lo
	v_sub_f32_dpp v19, v14, v14 quad_perm:[1,0,3,2] row_mask:0xf bank_mask:0xf bound_ctrl:1
	v_add_f32_dpp v14, v14, v14 quad_perm:[1,0,3,2] row_mask:0xf bank_mask:0xf bound_ctrl:1
	v_dual_cndmask_b32 v10, v21, v10 :: v_dual_cndmask_b32 v15, v20, v17
	v_sub_f32_dpp v17, v16, v16 quad_perm:[1,0,3,2] row_mask:0xf bank_mask:0xf bound_ctrl:1
	v_add_f32_dpp v16, v16, v16 quad_perm:[1,0,3,2] row_mask:0xf bank_mask:0xf bound_ctrl:1
	s_delay_alu instid0(VALU_DEP_4) | instskip(SKIP_4) | instid1(VALU_DEP_3)
	v_cndmask_b32_e32 v14, v19, v14, vcc_lo
	v_sub_f32_dpp v19, v13, v13 quad_perm:[1,0,3,2] row_mask:0xf bank_mask:0xf bound_ctrl:1
	v_add_f32_dpp v13, v13, v13 quad_perm:[1,0,3,2] row_mask:0xf bank_mask:0xf bound_ctrl:1
	v_sub_f32_dpp v20, v8, v8 quad_perm:[1,0,3,2] row_mask:0xf bank_mask:0xf bound_ctrl:1
	v_add_f32_dpp v8, v8, v8 quad_perm:[1,0,3,2] row_mask:0xf bank_mask:0xf bound_ctrl:1
	v_cndmask_b32_e32 v13, v19, v13, vcc_lo
	v_sub_f32_dpp v21, v12, v12 quad_perm:[1,0,3,2] row_mask:0xf bank_mask:0xf bound_ctrl:1
	v_add_f32_dpp v12, v12, v12 quad_perm:[1,0,3,2] row_mask:0xf bank_mask:0xf bound_ctrl:1
	v_sub_f32_dpp v19, v1, v1 quad_perm:[1,0,3,2] row_mask:0xf bank_mask:0xf bound_ctrl:1
	v_add_f32_dpp v1, v1, v1 quad_perm:[1,0,3,2] row_mask:0xf bank_mask:0xf bound_ctrl:1
	v_cndmask_b32_e32 v16, v17, v16, vcc_lo
	s_delay_alu instid0(VALU_DEP_4) | instskip(SKIP_3) | instid1(VALU_DEP_2)
	v_cndmask_b32_e32 v12, v21, v12, vcc_lo
	v_sub_f32_dpp v21, v5, v5 quad_perm:[1,0,3,2] row_mask:0xf bank_mask:0xf bound_ctrl:1
	v_add_f32_dpp v5, v5, v5 quad_perm:[1,0,3,2] row_mask:0xf bank_mask:0xf bound_ctrl:1
	v_cndmask_b32_e32 v1, v19, v1, vcc_lo
	v_cndmask_b32_e32 v5, v21, v5, vcc_lo
	v_sub_f32_dpp v22, v18, v18 quad_perm:[1,0,3,2] row_mask:0xf bank_mask:0xf bound_ctrl:1
	v_add_f32_dpp v18, v18, v18 quad_perm:[1,0,3,2] row_mask:0xf bank_mask:0xf bound_ctrl:1
	v_and_b32_e32 v21, 2, v0
	s_delay_alu instid0(VALU_DEP_2) | instskip(SKIP_4) | instid1(VALU_DEP_3)
	v_cndmask_b32_e32 v17, v22, v18, vcc_lo
	v_sub_f32_dpp v18, v6, v6 quad_perm:[1,0,3,2] row_mask:0xf bank_mask:0xf bound_ctrl:1
	v_add_f32_dpp v6, v6, v6 quad_perm:[1,0,3,2] row_mask:0xf bank_mask:0xf bound_ctrl:1
	v_sub_f32_dpp v22, v4, v4 quad_perm:[1,0,3,2] row_mask:0xf bank_mask:0xf bound_ctrl:1
	v_add_f32_dpp v4, v4, v4 quad_perm:[1,0,3,2] row_mask:0xf bank_mask:0xf bound_ctrl:1
	v_cndmask_b32_e32 v6, v18, v6, vcc_lo
	v_sub_f32_dpp v18, v3, v3 quad_perm:[1,0,3,2] row_mask:0xf bank_mask:0xf bound_ctrl:1
	v_add_f32_dpp v3, v3, v3 quad_perm:[1,0,3,2] row_mask:0xf bank_mask:0xf bound_ctrl:1
	s_delay_alu instid0(VALU_DEP_4) | instskip(SKIP_2) | instid1(VALU_DEP_4)
	v_cndmask_b32_e32 v4, v22, v4, vcc_lo
	v_sub_f32_dpp v22, v11, v11 quad_perm:[2,3,0,1] row_mask:0xf bank_mask:0xf bound_ctrl:1
	v_add_f32_dpp v11, v11, v11 quad_perm:[2,3,0,1] row_mask:0xf bank_mask:0xf bound_ctrl:1
	v_cndmask_b32_e32 v3, v18, v3, vcc_lo
	v_sub_f32_dpp v18, v15, v15 quad_perm:[2,3,0,1] row_mask:0xf bank_mask:0xf bound_ctrl:1
	v_add_f32_dpp v15, v15, v15 quad_perm:[2,3,0,1] row_mask:0xf bank_mask:0xf bound_ctrl:1
	;; [unrolled: 3-line block ×3, first 2 shown]
	v_sub_f32_dpp v19, v10, v10 quad_perm:[2,3,0,1] row_mask:0xf bank_mask:0xf bound_ctrl:1
	v_add_f32_dpp v10, v10, v10 quad_perm:[2,3,0,1] row_mask:0xf bank_mask:0xf bound_ctrl:1
	s_delay_alu instid0(VALU_DEP_3) | instskip(SKIP_2) | instid1(VALU_DEP_1)
	v_cndmask_b32_e32 v7, v20, v7, vcc_lo
	v_sub_f32_dpp v20, v2, v2 quad_perm:[1,0,3,2] row_mask:0xf bank_mask:0xf bound_ctrl:1
	v_add_f32_dpp v2, v2, v2 quad_perm:[1,0,3,2] row_mask:0xf bank_mask:0xf bound_ctrl:1
	v_cndmask_b32_e32 v2, v20, v2, vcc_lo
	v_cmp_eq_u32_e32 vcc_lo, 0, v21
	v_sub_f32_dpp v20, v16, v16 quad_perm:[2,3,0,1] row_mask:0xf bank_mask:0xf bound_ctrl:1
	v_add_f32_dpp v16, v16, v16 quad_perm:[2,3,0,1] row_mask:0xf bank_mask:0xf bound_ctrl:1
	v_cndmask_b32_e32 v10, v19, v10, vcc_lo
	v_sub_f32_dpp v19, v17, v17 quad_perm:[2,3,0,1] row_mask:0xf bank_mask:0xf bound_ctrl:1
	v_add_f32_dpp v17, v17, v17 quad_perm:[2,3,0,1] row_mask:0xf bank_mask:0xf bound_ctrl:1
	v_cndmask_b32_e32 v11, v22, v11, vcc_lo
	;; [unrolled: 3-line block ×3, first 2 shown]
	v_cndmask_b32_e32 v17, v19, v17, vcc_lo
	v_sub_f32_dpp v18, v12, v12 quad_perm:[2,3,0,1] row_mask:0xf bank_mask:0xf bound_ctrl:1
	v_add_f32_dpp v12, v12, v12 quad_perm:[2,3,0,1] row_mask:0xf bank_mask:0xf bound_ctrl:1
	v_cndmask_b32_e32 v14, v21, v14, vcc_lo
	v_sub_f32_dpp v21, v13, v13 quad_perm:[2,3,0,1] row_mask:0xf bank_mask:0xf bound_ctrl:1
	v_add_f32_dpp v13, v13, v13 quad_perm:[2,3,0,1] row_mask:0xf bank_mask:0xf bound_ctrl:1
	v_sub_f32_dpp v22, v8, v8 quad_perm:[2,3,0,1] row_mask:0xf bank_mask:0xf bound_ctrl:1
	v_cndmask_b32_e32 v12, v18, v12, vcc_lo
	v_sub_f32_dpp v18, v5, v5 quad_perm:[2,3,0,1] row_mask:0xf bank_mask:0xf bound_ctrl:1
	v_add_f32_dpp v5, v5, v5 quad_perm:[2,3,0,1] row_mask:0xf bank_mask:0xf bound_ctrl:1
	v_add_f32_dpp v8, v8, v8 quad_perm:[2,3,0,1] row_mask:0xf bank_mask:0xf bound_ctrl:1
	v_cndmask_b32_e32 v13, v21, v13, vcc_lo
	v_sub_f32_dpp v21, v1, v1 quad_perm:[2,3,0,1] row_mask:0xf bank_mask:0xf bound_ctrl:1
	v_add_f32_dpp v1, v1, v1 quad_perm:[2,3,0,1] row_mask:0xf bank_mask:0xf bound_ctrl:1
	v_cndmask_b32_e32 v16, v20, v16, vcc_lo
	v_sub_f32_dpp v20, v6, v6 quad_perm:[2,3,0,1] row_mask:0xf bank_mask:0xf bound_ctrl:1
	v_add_f32_dpp v6, v6, v6 quad_perm:[2,3,0,1] row_mask:0xf bank_mask:0xf bound_ctrl:1
	v_cndmask_b32_e32 v5, v18, v5, vcc_lo
	v_cndmask_b32_e32 v1, v21, v1, vcc_lo
	v_mov_b32_dpp v18, v11 row_shl:4 row_mask:0xf bank_mask:0x5 bound_ctrl:1
	v_and_b32_e32 v21, 4, v0
	s_delay_alu instid0(VALU_DEP_2) | instskip(SKIP_3) | instid1(VALU_DEP_4)
	v_mov_b32_dpp v18, v11 row_shr:4 row_mask:0xf bank_mask:0xa bound_ctrl:1
	v_cndmask_b32_e32 v8, v22, v8, vcc_lo
	v_sub_f32_dpp v22, v7, v7 quad_perm:[2,3,0,1] row_mask:0xf bank_mask:0xf bound_ctrl:1
	v_add_f32_dpp v7, v7, v7 quad_perm:[2,3,0,1] row_mask:0xf bank_mask:0xf bound_ctrl:1
	v_dual_cndmask_b32 v6, v20, v6 :: v_dual_sub_f32 v23, v18, v11
	v_sub_f32_dpp v20, v3, v3 quad_perm:[2,3,0,1] row_mask:0xf bank_mask:0xf bound_ctrl:1
	v_add_f32_dpp v3, v3, v3 quad_perm:[2,3,0,1] row_mask:0xf bank_mask:0xf bound_ctrl:1
	s_delay_alu instid0(VALU_DEP_4) | instskip(SKIP_2) | instid1(VALU_DEP_4)
	v_cndmask_b32_e32 v7, v22, v7, vcc_lo
	v_mov_b32_dpp v22, v10 row_shl:4 row_mask:0xf bank_mask:0x5 bound_ctrl:1
	v_add_f32_e32 v11, v11, v18
	v_cndmask_b32_e32 v3, v20, v3, vcc_lo
	v_mov_b32_dpp v20, v15 row_shl:4 row_mask:0xf bank_mask:0x5 bound_ctrl:1
	v_sub_f32_dpp v19, v4, v4 quad_perm:[2,3,0,1] row_mask:0xf bank_mask:0xf bound_ctrl:1
	v_add_f32_dpp v4, v4, v4 quad_perm:[2,3,0,1] row_mask:0xf bank_mask:0xf bound_ctrl:1
	v_mov_b32_dpp v22, v10 row_shr:4 row_mask:0xf bank_mask:0xa bound_ctrl:1
	s_delay_alu instid0(VALU_DEP_4) | instskip(NEXT) | instid1(VALU_DEP_1)
	v_mov_b32_dpp v20, v15 row_shr:4 row_mask:0xf bank_mask:0xa bound_ctrl:1
	v_dual_sub_f32 v18, v20, v15 :: v_dual_add_f32 v15, v15, v20
	s_delay_alu instid0(VALU_DEP_4)
	v_cndmask_b32_e32 v4, v19, v4, vcc_lo
	v_sub_f32_dpp v19, v2, v2 quad_perm:[2,3,0,1] row_mask:0xf bank_mask:0xf bound_ctrl:1
	v_add_f32_dpp v2, v2, v2 quad_perm:[2,3,0,1] row_mask:0xf bank_mask:0xf bound_ctrl:1
	v_sub_f32_e32 v20, v22, v10
	v_add_f32_e32 v10, v10, v22
	v_mov_b32_dpp v22, v8 row_shl:4 row_mask:0xf bank_mask:0x5 bound_ctrl:1
	s_delay_alu instid0(VALU_DEP_1)
	v_mov_b32_dpp v22, v8 row_shr:4 row_mask:0xf bank_mask:0xa bound_ctrl:1
	v_cndmask_b32_e32 v2, v19, v2, vcc_lo
	v_cmp_eq_u32_e32 vcc_lo, 0, v21
	v_mov_b32_dpp v19, v16 row_shl:4 row_mask:0xf bank_mask:0x5 bound_ctrl:1
	v_mov_b32_dpp v21, v14 row_shl:4 row_mask:0xf bank_mask:0x5 bound_ctrl:1
	v_cndmask_b32_e32 v15, v18, v15, vcc_lo
	s_delay_alu instid0(VALU_DEP_3) | instskip(NEXT) | instid1(VALU_DEP_3)
	v_mov_b32_dpp v19, v16 row_shr:4 row_mask:0xf bank_mask:0xa bound_ctrl:1
	v_mov_b32_dpp v21, v14 row_shr:4 row_mask:0xf bank_mask:0xa bound_ctrl:1
	v_cndmask_b32_e32 v11, v23, v11, vcc_lo
	v_mov_b32_dpp v23, v17 row_shl:4 row_mask:0xf bank_mask:0x5 bound_ctrl:1
	s_delay_alu instid0(VALU_DEP_4) | instskip(NEXT) | instid1(VALU_DEP_4)
	v_sub_f32_e32 v18, v19, v16
	v_dual_add_f32 v16, v16, v19 :: v_dual_sub_f32 v19, v21, v14
	v_add_f32_e32 v14, v14, v21
	v_dual_sub_f32 v21, v22, v8 :: v_dual_add_f32 v8, v8, v22
	v_mov_b32_dpp v23, v17 row_shr:4 row_mask:0xf bank_mask:0xa bound_ctrl:1
	s_delay_alu instid0(VALU_DEP_4) | instskip(NEXT) | instid1(VALU_DEP_4)
	v_cndmask_b32_e32 v16, v18, v16, vcc_lo
	v_cndmask_b32_e32 v14, v19, v14, vcc_lo
	v_mov_b32_dpp v19, v6 row_shl:4 row_mask:0xf bank_mask:0x5 bound_ctrl:1
	v_cndmask_b32_e32 v8, v21, v8, vcc_lo
	v_mov_b32_dpp v21, v13 row_shl:4 row_mask:0xf bank_mask:0x5 bound_ctrl:1
	v_mov_b32_dpp v22, v7 row_shl:4 row_mask:0xf bank_mask:0x5 bound_ctrl:1
	s_delay_alu instid0(VALU_DEP_4) | instskip(NEXT) | instid1(VALU_DEP_3)
	v_mov_b32_dpp v19, v6 row_shr:4 row_mask:0xf bank_mask:0xa bound_ctrl:1
	v_mov_b32_dpp v21, v13 row_shr:4 row_mask:0xf bank_mask:0xa bound_ctrl:1
	v_cndmask_b32_e32 v10, v20, v10, vcc_lo
	v_mov_b32_dpp v20, v12 row_shl:4 row_mask:0xf bank_mask:0x5 bound_ctrl:1
	v_mov_b32_dpp v22, v7 row_shr:4 row_mask:0xf bank_mask:0xa bound_ctrl:1
	s_delay_alu instid0(VALU_DEP_2) | instskip(NEXT) | instid1(VALU_DEP_1)
	v_mov_b32_dpp v20, v12 row_shr:4 row_mask:0xf bank_mask:0xa bound_ctrl:1
	v_sub_f32_e32 v18, v20, v12
	v_add_f32_e32 v12, v12, v20
	v_dual_sub_f32 v20, v23, v17 :: v_dual_add_f32 v17, v17, v23
	v_mov_b32_dpp v23, v4 row_shl:4 row_mask:0xf bank_mask:0x5 bound_ctrl:1
	s_delay_alu instid0(VALU_DEP_2) | instskip(SKIP_1) | instid1(VALU_DEP_3)
	v_dual_cndmask_b32 v12, v18, v12 :: v_dual_cndmask_b32 v17, v20, v17
	v_mov_b32_dpp v20, v5 row_shl:4 row_mask:0xf bank_mask:0x5 bound_ctrl:1
	v_mov_b32_dpp v23, v4 row_shr:4 row_mask:0xf bank_mask:0xa bound_ctrl:1
	s_delay_alu instid0(VALU_DEP_2)
	v_mov_b32_dpp v20, v5 row_shr:4 row_mask:0xf bank_mask:0xa bound_ctrl:1
	v_sub_f32_e32 v18, v19, v6
	v_dual_add_f32 v6, v6, v19 :: v_dual_sub_f32 v19, v21, v13
	v_add_f32_e32 v13, v13, v21
	v_sub_f32_e32 v21, v22, v7
	v_add_f32_e32 v7, v7, v22
	s_delay_alu instid0(VALU_DEP_4)
	v_cndmask_b32_e32 v6, v18, v6, vcc_lo
	v_sub_f32_e32 v18, v20, v5
	v_cndmask_b32_e32 v13, v19, v13, vcc_lo
	v_mov_b32_dpp v19, v3 row_shl:4 row_mask:0xf bank_mask:0x5 bound_ctrl:1
	v_cndmask_b32_e32 v7, v21, v7, vcc_lo
	v_add_f32_e32 v5, v5, v20
	v_mov_b32_dpp v21, v1 row_shl:4 row_mask:0xf bank_mask:0x5 bound_ctrl:1
	v_mov_b32_dpp v22, v2 row_shl:4 row_mask:0xf bank_mask:0x5 bound_ctrl:1
	v_mov_b32_dpp v19, v3 row_shr:4 row_mask:0xf bank_mask:0xa bound_ctrl:1
	s_delay_alu instid0(VALU_DEP_4) | instskip(NEXT) | instid1(VALU_DEP_4)
	v_cndmask_b32_e32 v5, v18, v5, vcc_lo
	v_mov_b32_dpp v21, v1 row_shr:4 row_mask:0xf bank_mask:0xa bound_ctrl:1
	s_delay_alu instid0(VALU_DEP_4) | instskip(NEXT) | instid1(VALU_DEP_4)
	v_mov_b32_dpp v22, v2 row_shr:4 row_mask:0xf bank_mask:0xa bound_ctrl:1
	v_sub_f32_e32 v18, v19, v3
	v_add_f32_e32 v3, v3, v19
	v_sub_f32_e32 v20, v23, v4
	v_dual_add_f32 v4, v4, v23 :: v_dual_sub_f32 v19, v21, v1
	v_add_f32_e32 v1, v1, v21
	v_and_b32_e32 v21, 8, v0
	v_cndmask_b32_e32 v3, v18, v3, vcc_lo
	v_sub_f32_dpp v18, v15, v15 row_ror:8 row_mask:0xf bank_mask:0xf bound_ctrl:1
	v_add_f32_dpp v15, v15, v15 row_ror:8 row_mask:0xf bank_mask:0xf bound_ctrl:1
	v_cndmask_b32_e32 v4, v20, v4, vcc_lo
	v_sub_f32_e32 v20, v22, v2
	v_dual_add_f32 v2, v2, v22 :: v_dual_cndmask_b32 v1, v19, v1
	v_sub_f32_dpp v22, v11, v11 row_ror:8 row_mask:0xf bank_mask:0xf bound_ctrl:1
	v_add_f32_dpp v11, v11, v11 row_ror:8 row_mask:0xf bank_mask:0xf bound_ctrl:1
	v_sub_f32_dpp v19, v10, v10 row_ror:8 row_mask:0xf bank_mask:0xf bound_ctrl:1
	s_delay_alu instid0(VALU_DEP_4)
	v_cndmask_b32_e32 v2, v20, v2, vcc_lo
	v_cmp_eq_u32_e32 vcc_lo, 0, v21
	v_add_f32_dpp v10, v10, v10 row_ror:8 row_mask:0xf bank_mask:0xf bound_ctrl:1
	v_sub_f32_dpp v20, v16, v16 row_ror:8 row_mask:0xf bank_mask:0xf bound_ctrl:1
	v_add_f32_dpp v16, v16, v16 row_ror:8 row_mask:0xf bank_mask:0xf bound_ctrl:1
	v_sub_f32_dpp v21, v14, v14 row_ror:8 row_mask:0xf bank_mask:0xf bound_ctrl:1
	v_cndmask_b32_e32 v15, v18, v15, vcc_lo
	v_sub_f32_dpp v18, v12, v12 row_ror:8 row_mask:0xf bank_mask:0xf bound_ctrl:1
	v_add_f32_dpp v12, v12, v12 row_ror:8 row_mask:0xf bank_mask:0xf bound_ctrl:1
	v_cndmask_b32_e32 v11, v22, v11, vcc_lo
	v_sub_f32_dpp v22, v8, v8 row_ror:8 row_mask:0xf bank_mask:0xf bound_ctrl:1
	v_add_f32_dpp v8, v8, v8 row_ror:8 row_mask:0xf bank_mask:0xf bound_ctrl:1
	v_add_f32_dpp v14, v14, v14 row_ror:8 row_mask:0xf bank_mask:0xf bound_ctrl:1
	v_cndmask_b32_e32 v12, v18, v12, vcc_lo
	v_sub_f32_dpp v18, v5, v5 row_ror:8 row_mask:0xf bank_mask:0xf bound_ctrl:1
	v_add_f32_dpp v5, v5, v5 row_ror:8 row_mask:0xf bank_mask:0xf bound_ctrl:1
	v_cndmask_b32_e32 v10, v19, v10, vcc_lo
	v_sub_f32_dpp v19, v17, v17 row_ror:8 row_mask:0xf bank_mask:0xf bound_ctrl:1
	v_add_f32_dpp v17, v17, v17 row_ror:8 row_mask:0xf bank_mask:0xf bound_ctrl:1
	s_delay_alu instid0(VALU_DEP_4)
	v_cndmask_b32_e32 v5, v18, v5, vcc_lo
	v_permlanex16_b32 v18, v11, s1, 0xfedcba98 op_sel:[1,1]
	v_cndmask_b32_e32 v16, v20, v16, vcc_lo
	v_cndmask_b32_e32 v8, v22, v8, vcc_lo
	v_sub_f32_dpp v22, v7, v7 row_ror:8 row_mask:0xf bank_mask:0xf bound_ctrl:1
	v_add_f32_dpp v7, v7, v7 row_ror:8 row_mask:0xf bank_mask:0xf bound_ctrl:1
	v_cndmask_b32_e32 v17, v19, v17, vcc_lo
	v_sub_f32_dpp v20, v6, v6 row_ror:8 row_mask:0xf bank_mask:0xf bound_ctrl:1
	v_add_f32_dpp v6, v6, v6 row_ror:8 row_mask:0xf bank_mask:0xf bound_ctrl:1
	s_delay_alu instid0(VALU_DEP_4) | instskip(SKIP_2) | instid1(VALU_DEP_4)
	v_dual_cndmask_b32 v7, v22, v7 :: v_dual_and_b32 v0, 16, v0
	v_sub_f32_dpp v19, v4, v4 row_ror:8 row_mask:0xf bank_mask:0xf bound_ctrl:1
	v_add_f32_dpp v4, v4, v4 row_ror:8 row_mask:0xf bank_mask:0xf bound_ctrl:1
	v_cndmask_b32_e32 v6, v20, v6, vcc_lo
	v_sub_f32_dpp v20, v3, v3 row_ror:8 row_mask:0xf bank_mask:0xf bound_ctrl:1
	v_add_f32_dpp v3, v3, v3 row_ror:8 row_mask:0xf bank_mask:0xf bound_ctrl:1
	v_cmp_eq_u32_e64 s0, 0, v0
	s_delay_alu instid0(VALU_DEP_2) | instskip(SKIP_4) | instid1(VALU_DEP_1)
	v_cndmask_b32_e32 v3, v20, v3, vcc_lo
	v_permlanex16_b32 v20, v15, s1, 0xfedcba98 op_sel:[1,1]
	v_cndmask_b32_e32 v14, v21, v14, vcc_lo
	v_sub_f32_dpp v21, v13, v13 row_ror:8 row_mask:0xf bank_mask:0xf bound_ctrl:1
	v_add_f32_dpp v13, v13, v13 row_ror:8 row_mask:0xf bank_mask:0xf bound_ctrl:1
	v_cndmask_b32_e32 v13, v21, v13, vcc_lo
	v_sub_f32_dpp v21, v1, v1 row_ror:8 row_mask:0xf bank_mask:0xf bound_ctrl:1
	v_add_f32_dpp v1, v1, v1 row_ror:8 row_mask:0xf bank_mask:0xf bound_ctrl:1
	s_delay_alu instid0(VALU_DEP_1) | instskip(SKIP_3) | instid1(VALU_DEP_2)
	v_cndmask_b32_e32 v1, v21, v1, vcc_lo
	v_sub_f32_e32 v21, v18, v11
	v_dual_add_f32 v11, v11, v18 :: v_dual_sub_f32 v18, v20, v15
	v_add_f32_e32 v15, v15, v20
	v_cndmask_b32_e64 v11, v21, v11, s0
	v_permlanex16_b32 v21, v1, s1, 0xfedcba98 op_sel:[1,1]
	s_delay_alu instid0(VALU_DEP_3) | instskip(SKIP_4) | instid1(VALU_DEP_1)
	v_cndmask_b32_e64 v15, v18, v15, s0
	v_permlanex16_b32 v18, v14, s1, 0xfedcba98 op_sel:[1,1]
	v_cndmask_b32_e32 v4, v19, v4, vcc_lo
	v_sub_f32_dpp v19, v2, v2 row_ror:8 row_mask:0xf bank_mask:0xf bound_ctrl:1
	v_add_f32_dpp v2, v2, v2 row_ror:8 row_mask:0xf bank_mask:0xf bound_ctrl:1
	v_cndmask_b32_e32 v0, v19, v2, vcc_lo
	v_permlanex16_b32 v2, v10, s1, 0xfedcba98 op_sel:[1,1]
	v_permlanex16_b32 v19, v16, s1, 0xfedcba98 op_sel:[1,1]
	s_delay_alu instid0(VALU_DEP_2) | instskip(SKIP_1) | instid1(VALU_DEP_3)
	v_sub_f32_e32 v20, v2, v10
	v_add_f32_e32 v2, v10, v2
	v_sub_f32_e32 v10, v19, v16
	v_dual_add_f32 v16, v16, v19 :: v_dual_sub_f32 v19, v18, v14
	v_add_f32_e32 v14, v14, v18
	s_delay_alu instid0(VALU_DEP_4) | instskip(SKIP_1) | instid1(VALU_DEP_4)
	v_cndmask_b32_e64 v18, v20, v2, s0
	v_permlanex16_b32 v2, v8, s1, 0xfedcba98 op_sel:[1,1]
	v_cndmask_b32_e64 v10, v10, v16, s0
	v_permlanex16_b32 v16, v12, s1, 0xfedcba98 op_sel:[1,1]
	;; [unrolled: 2-line block ×3, first 2 shown]
	v_sub_f32_e32 v20, v2, v8
	v_add_f32_e32 v2, v8, v2
	v_sub_f32_e32 v8, v16, v12
	v_add_f32_e32 v12, v12, v16
	v_dual_sub_f32 v16, v19, v17 :: v_dual_add_f32 v17, v17, v19
	s_delay_alu instid0(VALU_DEP_4) | instskip(SKIP_1) | instid1(VALU_DEP_4)
	v_cndmask_b32_e64 v19, v20, v2, s0
	v_permlanex16_b32 v2, v6, s1, 0xfedcba98 op_sel:[1,1]
	v_cndmask_b32_e64 v8, v8, v12, s0
	v_permlanex16_b32 v12, v13, s1, 0xfedcba98 op_sel:[1,1]
	;; [unrolled: 2-line block ×3, first 2 shown]
	v_sub_f32_e32 v20, v2, v6
	v_add_f32_e32 v2, v6, v2
	v_sub_f32_e32 v6, v12, v13
	v_add_f32_e32 v12, v13, v12
	;; [unrolled: 2-line block ×3, first 2 shown]
	v_permlanex16_b32 v17, v5, s1, 0xfedcba98 op_sel:[1,1]
	v_cndmask_b32_e64 v20, v20, v2, s0
	v_permlanex16_b32 v2, v4, s1, 0xfedcba98 op_sel:[1,1]
	v_cndmask_b32_e64 v12, v6, v12, s0
	v_cndmask_b32_e64 v13, v13, v7, s0
	v_permlanex16_b32 v7, v3, s1, 0xfedcba98 op_sel:[1,1]
	v_sub_f32_e32 v6, v17, v5
	v_add_f32_e32 v5, v5, v17
	v_dual_sub_f32 v17, v2, v4 :: v_dual_add_f32 v2, v4, v2
	s_delay_alu instid0(VALU_DEP_4)
	v_sub_f32_e32 v22, v7, v3
	v_add_f32_e32 v3, v3, v7
	v_sub_f32_e32 v7, v21, v1
	v_permlanex16_b32 v4, v0, s1, 0xfedcba98 op_sel:[1,1]
	v_add_f32_e32 v1, v1, v21
	v_cndmask_b32_e64 v23, v6, v5, s0
	s_delay_alu instid0(VALU_DEP_3) | instskip(SKIP_4) | instid1(VALU_DEP_4)
	v_sub_f32_e32 v21, v4, v0
	v_add_f32_e32 v0, v0, v4
	v_cndmask_b32_e64 v4, v17, v2, s0
	v_cndmask_b32_e64 v5, v7, v1, s0
	;; [unrolled: 1-line block ×4, first 2 shown]
	s_add_u32 s0, s4, s2
	s_addc_u32 s1, s5, s3
	s_mov_b32 s3, 0x3d3504f3
	s_lshl_b32 s2, s12, 10
	v_fma_mixlo_f16 v3, v8, s3, 0
	v_fma_mixlo_f16 v2, v14, s3, 0
	;; [unrolled: 1-line block ×8, first 2 shown]
	v_fma_mixhi_f16 v3, v16, s3, 0
	v_fma_mixhi_f16 v2, v19, s3, 0
	;; [unrolled: 1-line block ×8, first 2 shown]
	s_and_b32 s1, s1, 0xffff
	s_mov_b32 s3, -1
	buffer_store_b128 v[0:3], v9, s[0:3], 0 offen
	;;#ASMSTART
	s_nop 0
	;;#ASMEND
	buffer_store_b128 v[4:7], v9, s[0:3], 16 offen
	;;#ASMSTART
	s_nop 0
	;;#ASMEND
	s_nop 0
	s_sendmsg sendmsg(MSG_DEALLOC_VGPRS)
	s_endpgm
	.section	.rodata,"a",@progbits
	.p2align	6, 0x0
	.amdhsa_kernel _ZN5aiter55rope_hadamard_rotate_activation_fp4quant_inplace_kernelIDF16_Li512ELb0ELi16EEEvPT_PKS1_S4_S4_PKliiiii
		.amdhsa_group_segment_fixed_size 0
		.amdhsa_private_segment_fixed_size 0
		.amdhsa_kernarg_size 60
		.amdhsa_user_sgpr_count 15
		.amdhsa_user_sgpr_dispatch_ptr 0
		.amdhsa_user_sgpr_queue_ptr 0
		.amdhsa_user_sgpr_kernarg_segment_ptr 1
		.amdhsa_user_sgpr_dispatch_id 0
		.amdhsa_user_sgpr_private_segment_size 0
		.amdhsa_wavefront_size32 1
		.amdhsa_uses_dynamic_stack 0
		.amdhsa_enable_private_segment 0
		.amdhsa_system_sgpr_workgroup_id_x 1
		.amdhsa_system_sgpr_workgroup_id_y 0
		.amdhsa_system_sgpr_workgroup_id_z 0
		.amdhsa_system_sgpr_workgroup_info 0
		.amdhsa_system_vgpr_workitem_id 0
		.amdhsa_next_free_vgpr 42
		.amdhsa_next_free_sgpr 20
		.amdhsa_reserve_vcc 1
		.amdhsa_float_round_mode_32 0
		.amdhsa_float_round_mode_16_64 0
		.amdhsa_float_denorm_mode_32 3
		.amdhsa_float_denorm_mode_16_64 3
		.amdhsa_dx10_clamp 1
		.amdhsa_ieee_mode 1
		.amdhsa_fp16_overflow 0
		.amdhsa_workgroup_processor_mode 1
		.amdhsa_memory_ordered 1
		.amdhsa_forward_progress 0
		.amdhsa_shared_vgpr_count 0
		.amdhsa_exception_fp_ieee_invalid_op 0
		.amdhsa_exception_fp_denorm_src 0
		.amdhsa_exception_fp_ieee_div_zero 0
		.amdhsa_exception_fp_ieee_overflow 0
		.amdhsa_exception_fp_ieee_underflow 0
		.amdhsa_exception_fp_ieee_inexact 0
		.amdhsa_exception_int_div_zero 0
	.end_amdhsa_kernel
	.section	.text._ZN5aiter55rope_hadamard_rotate_activation_fp4quant_inplace_kernelIDF16_Li512ELb0ELi16EEEvPT_PKS1_S4_S4_PKliiiii,"axG",@progbits,_ZN5aiter55rope_hadamard_rotate_activation_fp4quant_inplace_kernelIDF16_Li512ELb0ELi16EEEvPT_PKS1_S4_S4_PKliiiii,comdat
.Lfunc_end29:
	.size	_ZN5aiter55rope_hadamard_rotate_activation_fp4quant_inplace_kernelIDF16_Li512ELb0ELi16EEEvPT_PKS1_S4_S4_PKliiiii, .Lfunc_end29-_ZN5aiter55rope_hadamard_rotate_activation_fp4quant_inplace_kernelIDF16_Li512ELb0ELi16EEEvPT_PKS1_S4_S4_PKliiiii
                                        ; -- End function
	.section	.AMDGPU.csdata,"",@progbits
; Kernel info:
; codeLenInByte = 3376
; NumSgprs: 22
; NumVgprs: 42
; ScratchSize: 0
; MemoryBound: 0
; FloatMode: 240
; IeeeMode: 1
; LDSByteSize: 0 bytes/workgroup (compile time only)
; SGPRBlocks: 2
; VGPRBlocks: 5
; NumSGPRsForWavesPerEU: 22
; NumVGPRsForWavesPerEU: 42
; Occupancy: 16
; WaveLimiterHint : 1
; COMPUTE_PGM_RSRC2:SCRATCH_EN: 0
; COMPUTE_PGM_RSRC2:USER_SGPR: 15
; COMPUTE_PGM_RSRC2:TRAP_HANDLER: 0
; COMPUTE_PGM_RSRC2:TGID_X_EN: 1
; COMPUTE_PGM_RSRC2:TGID_Y_EN: 0
; COMPUTE_PGM_RSRC2:TGID_Z_EN: 0
; COMPUTE_PGM_RSRC2:TIDIG_COMP_CNT: 0
	.section	.text._ZN5aiter55rope_hadamard_rotate_activation_fp4quant_inplace_kernelItLi512ELb0ELi16EEEvPT_PKS1_S4_S4_PKliiiii,"axG",@progbits,_ZN5aiter55rope_hadamard_rotate_activation_fp4quant_inplace_kernelItLi512ELb0ELi16EEEvPT_PKS1_S4_S4_PKliiiii,comdat
	.protected	_ZN5aiter55rope_hadamard_rotate_activation_fp4quant_inplace_kernelItLi512ELb0ELi16EEEvPT_PKS1_S4_S4_PKliiiii ; -- Begin function _ZN5aiter55rope_hadamard_rotate_activation_fp4quant_inplace_kernelItLi512ELb0ELi16EEEvPT_PKS1_S4_S4_PKliiiii
	.globl	_ZN5aiter55rope_hadamard_rotate_activation_fp4quant_inplace_kernelItLi512ELb0ELi16EEEvPT_PKS1_S4_S4_PKliiiii
	.p2align	8
	.type	_ZN5aiter55rope_hadamard_rotate_activation_fp4quant_inplace_kernelItLi512ELb0ELi16EEEvPT_PKS1_S4_S4_PKliiiii,@function
_ZN5aiter55rope_hadamard_rotate_activation_fp4quant_inplace_kernelItLi512ELb0ELi16EEEvPT_PKS1_S4_S4_PKliiiii: ; @_ZN5aiter55rope_hadamard_rotate_activation_fp4quant_inplace_kernelItLi512ELb0ELi16EEEvPT_PKS1_S4_S4_PKliiiii
; %bb.0:
	s_clause 0x1
	s_load_b128 s[8:11], s[0:1], 0x28
	s_load_b128 s[4:7], s[0:1], 0x0
	v_lshlrev_b32_e32 v1, 5, v0
	s_mov_b32 s19, -1
	v_lshrrev_b32_e32 v35, 5, v0
	v_lshlrev_b32_e32 v6, 4, v0
                                        ; implicit-def: $vgpr25
                                        ; implicit-def: $vgpr33
                                        ; implicit-def: $vgpr24
                                        ; implicit-def: $vgpr32
                                        ; implicit-def: $vgpr23
                                        ; implicit-def: $vgpr31
                                        ; implicit-def: $vgpr22
                                        ; implicit-def: $vgpr30
                                        ; implicit-def: $vgpr29
                                        ; implicit-def: $vgpr28
                                        ; implicit-def: $vgpr27
                                        ; implicit-def: $vgpr26
	s_delay_alu instid0(VALU_DEP_2) | instskip(NEXT) | instid1(VALU_DEP_1)
	v_lshlrev_b32_e32 v7, 9, v35
	v_sub_nc_u32_e32 v34, v6, v7
	s_waitcnt lgkmcnt(0)
	s_mul_hi_i32 s3, s11, s15
	s_mul_i32 s2, s11, s15
	s_sub_i32 s12, s8, s15
	s_lshl_b64 s[2:3], s[2:3], 1
	s_sub_i32 s13, 0x200, s10
	s_min_i32 s12, s12, 1
	s_add_u32 s16, s6, s2
	s_mul_i32 s6, s12, s11
	s_addc_u32 s7, s7, s3
	s_lshl_b32 s18, s6, 1
	s_and_b32 s17, s7, 0xffff
	s_clause 0x1
	buffer_load_b128 v[2:5], v1, s[16:19], 0 offen
	buffer_load_b128 v[18:21], v1, s[16:19], 16 offen
	v_cmp_le_i32_e32 vcc_lo, s13, v34
	s_waitcnt vmcnt(1)
	v_and_b32_e32 v16, 0xffff, v2
	v_lshrrev_b32_e32 v17, 16, v2
	v_and_b32_e32 v14, 0xffff, v3
	v_lshrrev_b32_e32 v15, 16, v3
	;; [unrolled: 2-line block ×4, first 2 shown]
	s_waitcnt vmcnt(0)
	v_and_b32_e32 v8, 0xffff, v18
	v_lshrrev_b32_e32 v9, 16, v18
	v_and_b32_e32 v6, 0xffff, v19
	v_lshrrev_b32_e32 v7, 16, v19
	;; [unrolled: 2-line block ×4, first 2 shown]
                                        ; implicit-def: $vgpr21
                                        ; implicit-def: $vgpr20
                                        ; implicit-def: $vgpr19
                                        ; implicit-def: $vgpr18
	s_and_saveexec_b32 s6, vcc_lo
	s_delay_alu instid0(SALU_CYCLE_1)
	s_xor_b32 s6, exec_lo, s6
	s_cbranch_execz .LBB30_2
; %bb.1:
	v_cvt_f32_u32_e32 v13, v13
	v_add_nc_u32_e32 v18, s15, v35
	s_add_i32 s7, s8, -1
	v_cvt_f32_u32_e32 v15, v15
	s_load_b64 s[14:15], s[0:1], 0x20
	v_subrev_nc_u32_e32 v21, s13, v34
	v_cmp_gt_i32_e32 vcc_lo, s8, v18
	v_cvt_f32_u32_e32 v17, v17
	v_cvt_f32_u32_e32 v11, v11
	;; [unrolled: 1-line block ×3, first 2 shown]
	v_lshrrev_b32_e32 v22, 31, v21
	v_cndmask_b32_e32 v18, s7, v18, vcc_lo
	s_ctz_i32_b32 s7, s9
	v_cvt_f32_u32_e32 v7, v7
	v_cvt_f32_u32_e32 v16, v16
	;; [unrolled: 1-line block ×3, first 2 shown]
	v_ashrrev_i32_e32 v18, s7, v18
	s_lshr_b32 s7, s10, 31
	v_cvt_f32_u32_e32 v3, v3
	s_add_i32 s7, s10, s7
	s_load_b128 s[8:11], s[0:1], 0x10
	v_ashrrev_i32_e32 v19, 31, v18
	s_ashr_i32 s0, s7, 1
	v_cvt_f32_u32_e32 v14, v14
	s_ashr_i32 s1, s0, 31
	v_cvt_f32_u32_e32 v12, v12
	v_lshlrev_b64 v[18:19], 3, v[18:19]
	v_cvt_f32_u32_e32 v10, v10
	v_cvt_f32_u32_e32 v8, v8
	;; [unrolled: 1-line block ×5, first 2 shown]
	s_waitcnt lgkmcnt(0)
	v_add_co_u32 v18, vcc_lo, s14, v18
	v_add_co_ci_u32_e32 v19, vcc_lo, s15, v19, vcc_lo
	global_load_b64 v[18:19], v[18:19], off
	s_waitcnt vmcnt(0)
	v_mul_lo_u32 v23, v19, s0
	v_mul_lo_u32 v24, v18, s1
	v_mad_u64_u32 v[19:20], null, v18, s0, 0
	v_add_nc_u32_e32 v18, v21, v22
	s_delay_alu instid0(VALU_DEP_1) | instskip(NEXT) | instid1(VALU_DEP_3)
	v_ashrrev_i32_e32 v21, 1, v18
	v_add3_u32 v20, v20, v24, v23
	s_delay_alu instid0(VALU_DEP_2) | instskip(NEXT) | instid1(VALU_DEP_2)
	v_ashrrev_i32_e32 v22, 31, v21
	v_lshlrev_b64 v[18:19], 1, v[19:20]
	s_delay_alu instid0(VALU_DEP_2) | instskip(NEXT) | instid1(VALU_DEP_2)
	v_lshlrev_b64 v[20:21], 1, v[21:22]
	v_add_co_u32 v22, vcc_lo, s8, v18
	s_delay_alu instid0(VALU_DEP_3) | instskip(SKIP_2) | instid1(VALU_DEP_4)
	v_add_co_ci_u32_e32 v23, vcc_lo, s9, v19, vcc_lo
	v_add_co_u32 v24, vcc_lo, s10, v18
	v_add_co_ci_u32_e32 v25, vcc_lo, s11, v19, vcc_lo
	v_add_co_u32 v18, vcc_lo, v22, v20
	s_delay_alu instid0(VALU_DEP_4) | instskip(NEXT) | instid1(VALU_DEP_4)
	v_add_co_ci_u32_e32 v19, vcc_lo, v23, v21, vcc_lo
	v_add_co_u32 v22, vcc_lo, v24, v20
	s_delay_alu instid0(VALU_DEP_4)
	v_add_co_ci_u32_e32 v23, vcc_lo, v25, v21, vcc_lo
	global_load_b128 v[18:21], v[18:19], off
	global_load_b128 v[22:25], v[22:23], off
	s_waitcnt vmcnt(0)
	v_and_b32_e32 v29, 0xffff, v23
	v_lshrrev_b32_e32 v23, 16, v23
	v_and_b32_e32 v31, 0xffff, v24
	v_lshrrev_b32_e32 v24, 16, v24
	s_delay_alu instid0(VALU_DEP_3)
	v_cvt_f32_u32_e32 v37, v23
	v_and_b32_e32 v26, 0xffff, v18
	v_lshrrev_b32_e32 v18, 16, v18
	v_cvt_f32_u32_e32 v31, v31
	v_and_b32_e32 v28, 0xffff, v19
	v_lshrrev_b32_e32 v19, 16, v19
	;; [unrolled: 3-line block ×3, first 2 shown]
	v_cvt_f32_u32_e32 v34, v18
	v_cvt_f32_u32_e32 v36, v19
	v_mul_f32_e32 v18, v26, v17
	v_and_b32_e32 v30, 0xffff, v20
	v_cvt_f32_u32_e32 v27, v27
	v_cvt_f32_u32_e32 v39, v24
	v_and_b32_e32 v32, 0xffff, v21
	v_lshrrev_b32_e32 v21, 16, v21
	v_lshrrev_b32_e32 v20, 16, v20
	v_dual_fmac_f32 v18, v27, v16 :: v_dual_and_b32 v33, 0xffff, v25
	v_lshrrev_b32_e32 v25, 16, v25
	v_cvt_f32_u32_e32 v35, v22
	v_cvt_f32_u32_e32 v28, v28
	;; [unrolled: 1-line block ×3, first 2 shown]
	v_mul_f32_e32 v42, v27, v17
	v_cvt_f32_u32_e32 v29, v29
	v_mul_f32_e32 v21, v36, v11
	v_cvt_f32_u32_e32 v30, v30
	v_cvt_f32_u32_e32 v38, v20
	;; [unrolled: 1-line block ×4, first 2 shown]
	v_mul_f32_e32 v17, v35, v15
	v_mul_f32_e32 v19, v34, v15
	;; [unrolled: 1-line block ×3, first 2 shown]
	v_dual_mul_f32 v20, v28, v13 :: v_dual_mul_f32 v13, v37, v11
	v_mul_f32_e32 v11, v31, v9
	v_dual_mul_f32 v22, v30, v9 :: v_dual_mul_f32 v9, v39, v7
	v_cvt_f32_u32_e32 v32, v32
	v_mul_f32_e32 v23, v38, v7
	v_mul_f32_e32 v7, v33, v5
	v_dual_mul_f32 v25, v40, v3 :: v_dual_fmac_f32 v20, v29, v12
	s_delay_alu instid0(VALU_DEP_4) | instskip(SKIP_2) | instid1(VALU_DEP_3)
	v_dual_mul_f32 v24, v32, v5 :: v_dual_mul_f32 v5, v41, v3
	v_fma_f32 v26, v26, v16, -v42
	v_fma_f32 v27, v34, v14, -v17
	v_dual_fmac_f32 v19, v35, v14 :: v_dual_fmac_f32 v24, v33, v4
	v_fma_f32 v28, v28, v12, -v15
	v_fma_f32 v29, v36, v10, -v13
	v_fmac_f32_e32 v21, v37, v10
	v_fma_f32 v30, v30, v8, -v11
	v_fmac_f32_e32 v22, v31, v8
	;; [unrolled: 2-line block ×3, first 2 shown]
	v_fma_f32 v32, v32, v4, -v7
	v_fma_f32 v33, v40, v2, -v5
	v_fmac_f32_e32 v25, v41, v2
                                        ; implicit-def: $vgpr16
                                        ; implicit-def: $vgpr17
                                        ; implicit-def: $vgpr14
                                        ; implicit-def: $vgpr15
                                        ; implicit-def: $vgpr12
                                        ; implicit-def: $vgpr13
                                        ; implicit-def: $vgpr10
                                        ; implicit-def: $vgpr11
                                        ; implicit-def: $vgpr8
                                        ; implicit-def: $vgpr9
                                        ; implicit-def: $vgpr6
                                        ; implicit-def: $vgpr7
                                        ; implicit-def: $vgpr4
                                        ; implicit-def: $vgpr5
                                        ; implicit-def: $vgpr2
                                        ; implicit-def: $vgpr3
.LBB30_2:
	s_and_not1_saveexec_b32 s0, s6
	s_cbranch_execz .LBB30_4
; %bb.3:
	v_cvt_f32_u32_e32 v26, v16
	v_cvt_f32_u32_e32 v18, v17
	;; [unrolled: 1-line block ×16, first 2 shown]
.LBB30_4:
	s_or_b32 exec_lo, exec_lo, s0
	v_dual_add_f32 v2, v26, v18 :: v_dual_sub_f32 v5, v27, v19
	v_dual_sub_f32 v3, v26, v18 :: v_dual_add_f32 v4, v27, v19
	v_dual_add_f32 v6, v28, v20 :: v_dual_sub_f32 v9, v29, v21
	v_dual_sub_f32 v7, v28, v20 :: v_dual_add_f32 v8, v29, v21
	;; [unrolled: 2-line block ×4, first 2 shown]
	v_add_f32_e32 v18, v2, v4
	v_sub_f32_e32 v2, v2, v4
	v_add_f32_e32 v4, v3, v5
	v_sub_f32_e32 v3, v3, v5
	;; [unrolled: 2-line block ×8, first 2 shown]
	v_add_f32_e32 v17, v18, v5
	v_dual_sub_f32 v5, v18, v5 :: v_dual_add_f32 v18, v4, v8
	v_sub_f32_e32 v4, v4, v8
	v_add_f32_e32 v8, v2, v6
	v_sub_f32_e32 v2, v2, v6
	v_add_f32_e32 v6, v3, v7
	;; [unrolled: 2-line block ×8, first 2 shown]
	v_dual_sub_f32 v13, v18, v13 :: v_dual_add_f32 v18, v8, v16
	v_sub_f32_e32 v8, v8, v16
	v_add_f32_e32 v16, v6, v14
	v_sub_f32_dpp v19, v15, v15 quad_perm:[1,0,3,2] row_mask:0xf bank_mask:0xf bound_ctrl:1
	v_add_f32_dpp v15, v15, v15 quad_perm:[1,0,3,2] row_mask:0xf bank_mask:0xf bound_ctrl:1
	v_sub_f32_e32 v6, v6, v14
	v_add_f32_e32 v14, v5, v9
	v_sub_f32_e32 v5, v5, v9
	v_add_f32_e32 v9, v4, v12
	v_sub_f32_e32 v4, v4, v12
	v_sub_f32_dpp v20, v17, v17 quad_perm:[1,0,3,2] row_mask:0xf bank_mask:0xf bound_ctrl:1
	v_add_f32_dpp v17, v17, v17 quad_perm:[1,0,3,2] row_mask:0xf bank_mask:0xf bound_ctrl:1
	v_add_f32_e32 v12, v2, v10
	v_sub_f32_e32 v2, v2, v10
	v_and_b32_e32 v10, 1, v0
	v_sub_f32_dpp v21, v18, v18 quad_perm:[1,0,3,2] row_mask:0xf bank_mask:0xf bound_ctrl:1
	s_mov_b32 s1, 0x76543210
	s_delay_alu instid0(VALU_DEP_2)
	v_cmp_eq_u32_e32 vcc_lo, 0, v10
	v_add_f32_dpp v10, v18, v18 quad_perm:[1,0,3,2] row_mask:0xf bank_mask:0xf bound_ctrl:1
	v_add_f32_e32 v18, v3, v11
	v_sub_f32_e32 v3, v3, v11
	v_cndmask_b32_e32 v11, v19, v15, vcc_lo
	v_cndmask_b32_e32 v15, v20, v17, vcc_lo
	v_sub_f32_dpp v20, v9, v9 quad_perm:[1,0,3,2] row_mask:0xf bank_mask:0xf bound_ctrl:1
	v_add_f32_dpp v9, v9, v9 quad_perm:[1,0,3,2] row_mask:0xf bank_mask:0xf bound_ctrl:1
	v_sub_f32_dpp v17, v16, v16 quad_perm:[1,0,3,2] row_mask:0xf bank_mask:0xf bound_ctrl:1
	v_add_f32_dpp v16, v16, v16 quad_perm:[1,0,3,2] row_mask:0xf bank_mask:0xf bound_ctrl:1
	;; [unrolled: 2-line block ×3, first 2 shown]
	v_cndmask_b32_e32 v9, v20, v9, vcc_lo
	v_sub_f32_dpp v20, v8, v8 quad_perm:[1,0,3,2] row_mask:0xf bank_mask:0xf bound_ctrl:1
	v_add_f32_dpp v8, v8, v8 quad_perm:[1,0,3,2] row_mask:0xf bank_mask:0xf bound_ctrl:1
	v_cndmask_b32_e32 v10, v21, v10, vcc_lo
	v_sub_f32_dpp v21, v12, v12 quad_perm:[1,0,3,2] row_mask:0xf bank_mask:0xf bound_ctrl:1
	v_add_f32_dpp v12, v12, v12 quad_perm:[1,0,3,2] row_mask:0xf bank_mask:0xf bound_ctrl:1
	s_delay_alu instid0(VALU_DEP_4)
	v_cndmask_b32_e32 v8, v20, v8, vcc_lo
	v_sub_f32_dpp v20, v3, v3 quad_perm:[1,0,3,2] row_mask:0xf bank_mask:0xf bound_ctrl:1
	v_add_f32_dpp v3, v3, v3 quad_perm:[1,0,3,2] row_mask:0xf bank_mask:0xf bound_ctrl:1
	v_dual_cndmask_b32 v16, v17, v16 :: v_dual_cndmask_b32 v17, v22, v18
	v_sub_f32_dpp v18, v7, v7 quad_perm:[1,0,3,2] row_mask:0xf bank_mask:0xf bound_ctrl:1
	v_add_f32_dpp v7, v7, v7 quad_perm:[1,0,3,2] row_mask:0xf bank_mask:0xf bound_ctrl:1
	s_delay_alu instid0(VALU_DEP_4)
	v_cndmask_b32_e32 v3, v20, v3, vcc_lo
	v_sub_f32_dpp v19, v14, v14 quad_perm:[1,0,3,2] row_mask:0xf bank_mask:0xf bound_ctrl:1
	v_add_f32_dpp v14, v14, v14 quad_perm:[1,0,3,2] row_mask:0xf bank_mask:0xf bound_ctrl:1
	v_sub_f32_dpp v22, v5, v5 quad_perm:[1,0,3,2] row_mask:0xf bank_mask:0xf bound_ctrl:1
	v_add_f32_dpp v5, v5, v5 quad_perm:[1,0,3,2] row_mask:0xf bank_mask:0xf bound_ctrl:1
	v_cndmask_b32_e32 v7, v18, v7, vcc_lo
	v_sub_f32_dpp v18, v4, v4 quad_perm:[1,0,3,2] row_mask:0xf bank_mask:0xf bound_ctrl:1
	v_add_f32_dpp v4, v4, v4 quad_perm:[1,0,3,2] row_mask:0xf bank_mask:0xf bound_ctrl:1
	v_sub_f32_dpp v20, v16, v16 quad_perm:[2,3,0,1] row_mask:0xf bank_mask:0xf bound_ctrl:1
	v_cndmask_b32_e32 v5, v22, v5, vcc_lo
	v_sub_f32_dpp v22, v11, v11 quad_perm:[2,3,0,1] row_mask:0xf bank_mask:0xf bound_ctrl:1
	v_add_f32_dpp v11, v11, v11 quad_perm:[2,3,0,1] row_mask:0xf bank_mask:0xf bound_ctrl:1
	v_cndmask_b32_e32 v14, v19, v14, vcc_lo
	v_sub_f32_dpp v19, v13, v13 quad_perm:[1,0,3,2] row_mask:0xf bank_mask:0xf bound_ctrl:1
	v_add_f32_dpp v13, v13, v13 quad_perm:[1,0,3,2] row_mask:0xf bank_mask:0xf bound_ctrl:1
	;; [unrolled: 3-line block ×5, first 2 shown]
	v_add_f32_dpp v16, v16, v16 quad_perm:[2,3,0,1] row_mask:0xf bank_mask:0xf bound_ctrl:1
	v_dual_cndmask_b32 v6, v21, v6 :: v_dual_and_b32 v21, 2, v0
	s_delay_alu instid0(VALU_DEP_3) | instskip(SKIP_2) | instid1(VALU_DEP_4)
	v_cndmask_b32_e32 v2, v19, v2, vcc_lo
	v_sub_f32_dpp v19, v10, v10 quad_perm:[2,3,0,1] row_mask:0xf bank_mask:0xf bound_ctrl:1
	v_add_f32_dpp v10, v10, v10 quad_perm:[2,3,0,1] row_mask:0xf bank_mask:0xf bound_ctrl:1
	v_cmp_eq_u32_e32 vcc_lo, 0, v21
	s_delay_alu instid0(VALU_DEP_2)
	v_dual_cndmask_b32 v15, v18, v15 :: v_dual_cndmask_b32 v10, v19, v10
	v_sub_f32_dpp v18, v12, v12 quad_perm:[2,3,0,1] row_mask:0xf bank_mask:0xf bound_ctrl:1
	v_add_f32_dpp v12, v12, v12 quad_perm:[2,3,0,1] row_mask:0xf bank_mask:0xf bound_ctrl:1
	v_sub_f32_dpp v19, v17, v17 quad_perm:[2,3,0,1] row_mask:0xf bank_mask:0xf bound_ctrl:1
	v_add_f32_dpp v17, v17, v17 quad_perm:[2,3,0,1] row_mask:0xf bank_mask:0xf bound_ctrl:1
	v_cndmask_b32_e32 v11, v22, v11, vcc_lo
	v_sub_f32_dpp v21, v14, v14 quad_perm:[2,3,0,1] row_mask:0xf bank_mask:0xf bound_ctrl:1
	v_cndmask_b32_e32 v12, v18, v12, vcc_lo
	v_add_f32_dpp v14, v14, v14 quad_perm:[2,3,0,1] row_mask:0xf bank_mask:0xf bound_ctrl:1
	v_cndmask_b32_e32 v17, v19, v17, vcc_lo
	v_sub_f32_dpp v18, v6, v6 quad_perm:[2,3,0,1] row_mask:0xf bank_mask:0xf bound_ctrl:1
	v_add_f32_dpp v6, v6, v6 quad_perm:[2,3,0,1] row_mask:0xf bank_mask:0xf bound_ctrl:1
	v_sub_f32_dpp v19, v5, v5 quad_perm:[2,3,0,1] row_mask:0xf bank_mask:0xf bound_ctrl:1
	v_add_f32_dpp v5, v5, v5 quad_perm:[2,3,0,1] row_mask:0xf bank_mask:0xf bound_ctrl:1
	v_cndmask_b32_e32 v16, v20, v16, vcc_lo
	v_sub_f32_dpp v20, v7, v7 quad_perm:[2,3,0,1] row_mask:0xf bank_mask:0xf bound_ctrl:1
	v_add_f32_dpp v7, v7, v7 quad_perm:[2,3,0,1] row_mask:0xf bank_mask:0xf bound_ctrl:1
	v_cndmask_b32_e32 v6, v18, v6, vcc_lo
	v_mov_b32_dpp v18, v11 row_shl:4 row_mask:0xf bank_mask:0x5 bound_ctrl:1
	v_sub_f32_dpp v22, v9, v9 quad_perm:[2,3,0,1] row_mask:0xf bank_mask:0xf bound_ctrl:1
	v_add_f32_dpp v9, v9, v9 quad_perm:[2,3,0,1] row_mask:0xf bank_mask:0xf bound_ctrl:1
	v_cndmask_b32_e32 v7, v20, v7, vcc_lo
	v_sub_f32_dpp v20, v4, v4 quad_perm:[2,3,0,1] row_mask:0xf bank_mask:0xf bound_ctrl:1
	v_add_f32_dpp v4, v4, v4 quad_perm:[2,3,0,1] row_mask:0xf bank_mask:0xf bound_ctrl:1
	v_mov_b32_dpp v18, v11 row_shr:4 row_mask:0xf bank_mask:0xa bound_ctrl:1
	v_cndmask_b32_e32 v14, v21, v14, vcc_lo
	v_sub_f32_dpp v21, v13, v13 quad_perm:[2,3,0,1] row_mask:0xf bank_mask:0xf bound_ctrl:1
	v_add_f32_dpp v13, v13, v13 quad_perm:[2,3,0,1] row_mask:0xf bank_mask:0xf bound_ctrl:1
	v_cndmask_b32_e32 v4, v20, v4, vcc_lo
	v_mov_b32_dpp v20, v15 row_shl:4 row_mask:0xf bank_mask:0x5 bound_ctrl:1
	v_cndmask_b32_e32 v9, v22, v9, vcc_lo
	v_sub_f32_dpp v22, v8, v8 quad_perm:[2,3,0,1] row_mask:0xf bank_mask:0xf bound_ctrl:1
	v_cndmask_b32_e32 v13, v21, v13, vcc_lo
	v_sub_f32_dpp v21, v2, v2 quad_perm:[2,3,0,1] row_mask:0xf bank_mask:0xf bound_ctrl:1
	v_add_f32_dpp v2, v2, v2 quad_perm:[2,3,0,1] row_mask:0xf bank_mask:0xf bound_ctrl:1
	v_add_f32_dpp v8, v8, v8 quad_perm:[2,3,0,1] row_mask:0xf bank_mask:0xf bound_ctrl:1
	v_cndmask_b32_e32 v5, v19, v5, vcc_lo
	v_sub_f32_dpp v19, v3, v3 quad_perm:[2,3,0,1] row_mask:0xf bank_mask:0xf bound_ctrl:1
	v_add_f32_dpp v3, v3, v3 quad_perm:[2,3,0,1] row_mask:0xf bank_mask:0xf bound_ctrl:1
	v_mov_b32_dpp v20, v15 row_shr:4 row_mask:0xf bank_mask:0xa bound_ctrl:1
	v_dual_cndmask_b32 v2, v21, v2 :: v_dual_and_b32 v21, 4, v0
	s_delay_alu instid0(VALU_DEP_3)
	v_dual_cndmask_b32 v8, v22, v8 :: v_dual_cndmask_b32 v3, v19, v3
	v_mov_b32_dpp v22, v10 row_shl:4 row_mask:0xf bank_mask:0x5 bound_ctrl:1
	v_sub_f32_e32 v23, v18, v11
	v_add_f32_e32 v11, v11, v18
	v_cmp_eq_u32_e32 vcc_lo, 0, v21
	v_mov_b32_dpp v21, v14 row_shl:4 row_mask:0xf bank_mask:0x5 bound_ctrl:1
	v_mov_b32_dpp v22, v10 row_shr:4 row_mask:0xf bank_mask:0xa bound_ctrl:1
	v_mov_b32_dpp v19, v16 row_shl:4 row_mask:0xf bank_mask:0x5 bound_ctrl:1
	v_cndmask_b32_e32 v11, v23, v11, vcc_lo
	v_mov_b32_dpp v23, v17 row_shl:4 row_mask:0xf bank_mask:0x5 bound_ctrl:1
	v_mov_b32_dpp v21, v14 row_shr:4 row_mask:0xf bank_mask:0xa bound_ctrl:1
	v_dual_sub_f32 v18, v20, v15 :: v_dual_add_f32 v15, v15, v20
	v_sub_f32_e32 v20, v22, v10
	s_delay_alu instid0(VALU_DEP_4) | instskip(SKIP_4) | instid1(VALU_DEP_3)
	v_mov_b32_dpp v23, v17 row_shr:4 row_mask:0xf bank_mask:0xa bound_ctrl:1
	v_add_f32_e32 v10, v10, v22
	v_mov_b32_dpp v22, v9 row_shl:4 row_mask:0xf bank_mask:0x5 bound_ctrl:1
	v_mov_b32_dpp v19, v16 row_shr:4 row_mask:0xf bank_mask:0xa bound_ctrl:1
	v_cndmask_b32_e32 v15, v18, v15, vcc_lo
	v_mov_b32_dpp v22, v9 row_shr:4 row_mask:0xf bank_mask:0xa bound_ctrl:1
	s_delay_alu instid0(VALU_DEP_3) | instskip(SKIP_2) | instid1(VALU_DEP_4)
	v_sub_f32_e32 v18, v19, v16
	v_dual_add_f32 v16, v16, v19 :: v_dual_sub_f32 v19, v21, v14
	v_add_f32_e32 v14, v14, v21
	v_sub_f32_e32 v21, v22, v9
	v_add_f32_e32 v9, v9, v22
	v_mov_b32_dpp v22, v8 row_shl:4 row_mask:0xf bank_mask:0x5 bound_ctrl:1
	s_delay_alu instid0(VALU_DEP_2) | instskip(SKIP_1) | instid1(VALU_DEP_3)
	v_dual_cndmask_b32 v16, v18, v16 :: v_dual_cndmask_b32 v9, v21, v9
	v_mov_b32_dpp v21, v13 row_shl:4 row_mask:0xf bank_mask:0x5 bound_ctrl:1
	v_mov_b32_dpp v22, v8 row_shr:4 row_mask:0xf bank_mask:0xa bound_ctrl:1
	s_delay_alu instid0(VALU_DEP_2) | instskip(SKIP_2) | instid1(VALU_DEP_1)
	v_mov_b32_dpp v21, v13 row_shr:4 row_mask:0xf bank_mask:0xa bound_ctrl:1
	v_cndmask_b32_e32 v14, v19, v14, vcc_lo
	v_mov_b32_dpp v19, v7 row_shl:4 row_mask:0xf bank_mask:0x5 bound_ctrl:1
	v_mov_b32_dpp v19, v7 row_shr:4 row_mask:0xf bank_mask:0xa bound_ctrl:1
	v_cndmask_b32_e32 v10, v20, v10, vcc_lo
	v_mov_b32_dpp v20, v12 row_shl:4 row_mask:0xf bank_mask:0x5 bound_ctrl:1
	s_delay_alu instid0(VALU_DEP_1) | instskip(NEXT) | instid1(VALU_DEP_1)
	v_mov_b32_dpp v20, v12 row_shr:4 row_mask:0xf bank_mask:0xa bound_ctrl:1
	v_sub_f32_e32 v18, v20, v12
	v_add_f32_e32 v12, v12, v20
	v_dual_sub_f32 v20, v23, v17 :: v_dual_add_f32 v17, v17, v23
	v_mov_b32_dpp v23, v5 row_shl:4 row_mask:0xf bank_mask:0x5 bound_ctrl:1
	s_delay_alu instid0(VALU_DEP_3)
	v_cndmask_b32_e32 v12, v18, v12, vcc_lo
	v_sub_f32_e32 v18, v19, v7
	v_add_f32_e32 v7, v7, v19
	v_sub_f32_e32 v19, v21, v13
	v_add_f32_e32 v13, v13, v21
	v_sub_f32_e32 v21, v22, v8
	v_cndmask_b32_e32 v17, v20, v17, vcc_lo
	v_mov_b32_dpp v20, v6 row_shl:4 row_mask:0xf bank_mask:0x5 bound_ctrl:1
	v_add_f32_e32 v8, v8, v22
	v_mov_b32_dpp v22, v3 row_shl:4 row_mask:0xf bank_mask:0x5 bound_ctrl:1
	v_cndmask_b32_e32 v13, v19, v13, vcc_lo
	v_mov_b32_dpp v19, v4 row_shl:4 row_mask:0xf bank_mask:0x5 bound_ctrl:1
	v_mov_b32_dpp v20, v6 row_shr:4 row_mask:0xf bank_mask:0xa bound_ctrl:1
	v_cndmask_b32_e32 v7, v18, v7, vcc_lo
	v_mov_b32_dpp v22, v3 row_shr:4 row_mask:0xf bank_mask:0xa bound_ctrl:1
	v_cndmask_b32_e32 v8, v21, v8, vcc_lo
	v_mov_b32_dpp v21, v2 row_shl:4 row_mask:0xf bank_mask:0x5 bound_ctrl:1
	v_sub_f32_e32 v18, v20, v6
	v_mov_b32_dpp v19, v4 row_shr:4 row_mask:0xf bank_mask:0xa bound_ctrl:1
	v_mov_b32_dpp v23, v5 row_shr:4 row_mask:0xf bank_mask:0xa bound_ctrl:1
	s_delay_alu instid0(VALU_DEP_4) | instskip(SKIP_1) | instid1(VALU_DEP_1)
	v_mov_b32_dpp v21, v2 row_shr:4 row_mask:0xf bank_mask:0xa bound_ctrl:1
	v_add_f32_e32 v6, v6, v20
	v_cndmask_b32_e32 v6, v18, v6, vcc_lo
	v_sub_f32_e32 v18, v19, v4
	s_delay_alu instid0(VALU_DEP_4) | instskip(SKIP_1) | instid1(VALU_DEP_2)
	v_dual_add_f32 v4, v4, v19 :: v_dual_sub_f32 v19, v21, v2
	v_dual_add_f32 v2, v2, v21 :: v_dual_and_b32 v21, 8, v0
	v_cndmask_b32_e32 v4, v18, v4, vcc_lo
	v_sub_f32_dpp v18, v15, v15 row_ror:8 row_mask:0xf bank_mask:0xf bound_ctrl:1
	v_add_f32_dpp v15, v15, v15 row_ror:8 row_mask:0xf bank_mask:0xf bound_ctrl:1
	v_dual_sub_f32 v20, v23, v5 :: v_dual_add_f32 v5, v5, v23
	v_cndmask_b32_e32 v2, v19, v2, vcc_lo
	v_sub_f32_dpp v19, v10, v10 row_ror:8 row_mask:0xf bank_mask:0xf bound_ctrl:1
	v_add_f32_dpp v10, v10, v10 row_ror:8 row_mask:0xf bank_mask:0xf bound_ctrl:1
	s_delay_alu instid0(VALU_DEP_4) | instskip(SKIP_3) | instid1(VALU_DEP_3)
	v_dual_cndmask_b32 v5, v20, v5 :: v_dual_sub_f32 v20, v22, v3
	v_add_f32_e32 v3, v3, v22
	v_sub_f32_dpp v22, v11, v11 row_ror:8 row_mask:0xf bank_mask:0xf bound_ctrl:1
	v_add_f32_dpp v11, v11, v11 row_ror:8 row_mask:0xf bank_mask:0xf bound_ctrl:1
	v_cndmask_b32_e32 v3, v20, v3, vcc_lo
	v_cmp_eq_u32_e32 vcc_lo, 0, v21
	v_sub_f32_dpp v21, v14, v14 row_ror:8 row_mask:0xf bank_mask:0xf bound_ctrl:1
	v_add_f32_dpp v14, v14, v14 row_ror:8 row_mask:0xf bank_mask:0xf bound_ctrl:1
	v_cndmask_b32_e32 v11, v22, v11, vcc_lo
	v_sub_f32_dpp v22, v9, v9 row_ror:8 row_mask:0xf bank_mask:0xf bound_ctrl:1
	v_add_f32_dpp v9, v9, v9 row_ror:8 row_mask:0xf bank_mask:0xf bound_ctrl:1
	v_dual_cndmask_b32 v15, v18, v15 :: v_dual_cndmask_b32 v10, v19, v10
	v_cndmask_b32_e32 v14, v21, v14, vcc_lo
	v_sub_f32_dpp v18, v12, v12 row_ror:8 row_mask:0xf bank_mask:0xf bound_ctrl:1
	v_add_f32_dpp v12, v12, v12 row_ror:8 row_mask:0xf bank_mask:0xf bound_ctrl:1
	v_sub_f32_dpp v19, v17, v17 row_ror:8 row_mask:0xf bank_mask:0xf bound_ctrl:1
	v_add_f32_dpp v17, v17, v17 row_ror:8 row_mask:0xf bank_mask:0xf bound_ctrl:1
	;; [unrolled: 2-line block ×3, first 2 shown]
	v_cndmask_b32_e32 v9, v22, v9, vcc_lo
	s_delay_alu instid0(VALU_DEP_4) | instskip(SKIP_1) | instid1(VALU_DEP_4)
	v_dual_cndmask_b32 v12, v18, v12 :: v_dual_cndmask_b32 v17, v19, v17
	v_sub_f32_dpp v18, v6, v6 row_ror:8 row_mask:0xf bank_mask:0xf bound_ctrl:1
	v_cndmask_b32_e32 v13, v21, v13, vcc_lo
	v_sub_f32_dpp v20, v16, v16 row_ror:8 row_mask:0xf bank_mask:0xf bound_ctrl:1
	v_add_f32_dpp v16, v16, v16 row_ror:8 row_mask:0xf bank_mask:0xf bound_ctrl:1
	v_add_f32_dpp v6, v6, v6 row_ror:8 row_mask:0xf bank_mask:0xf bound_ctrl:1
	v_sub_f32_dpp v19, v5, v5 row_ror:8 row_mask:0xf bank_mask:0xf bound_ctrl:1
	v_add_f32_dpp v5, v5, v5 row_ror:8 row_mask:0xf bank_mask:0xf bound_ctrl:1
	v_and_b32_e32 v0, 16, v0
	v_sub_f32_dpp v21, v2, v2 row_ror:8 row_mask:0xf bank_mask:0xf bound_ctrl:1
	v_add_f32_dpp v2, v2, v2 row_ror:8 row_mask:0xf bank_mask:0xf bound_ctrl:1
	v_sub_f32_dpp v22, v8, v8 row_ror:8 row_mask:0xf bank_mask:0xf bound_ctrl:1
	v_dual_cndmask_b32 v5, v19, v5 :: v_dual_cndmask_b32 v6, v18, v6
	v_permlanex16_b32 v18, v11, s1, 0xfedcba98 op_sel:[1,1]
	v_cndmask_b32_e32 v16, v20, v16, vcc_lo
	v_sub_f32_dpp v20, v7, v7 row_ror:8 row_mask:0xf bank_mask:0xf bound_ctrl:1
	v_add_f32_dpp v7, v7, v7 row_ror:8 row_mask:0xf bank_mask:0xf bound_ctrl:1
	v_sub_f32_dpp v19, v3, v3 row_ror:8 row_mask:0xf bank_mask:0xf bound_ctrl:1
	v_add_f32_dpp v3, v3, v3 row_ror:8 row_mask:0xf bank_mask:0xf bound_ctrl:1
	v_cmp_eq_u32_e64 s0, 0, v0
	s_delay_alu instid0(VALU_DEP_4)
	v_dual_cndmask_b32 v2, v21, v2 :: v_dual_cndmask_b32 v7, v20, v7
	v_sub_f32_dpp v20, v4, v4 row_ror:8 row_mask:0xf bank_mask:0xf bound_ctrl:1
	v_add_f32_dpp v4, v4, v4 row_ror:8 row_mask:0xf bank_mask:0xf bound_ctrl:1
	v_cndmask_b32_e32 v0, v19, v3, vcc_lo
	v_permlanex16_b32 v3, v10, s1, 0xfedcba98 op_sel:[1,1]
	v_sub_f32_e32 v21, v18, v11
	s_delay_alu instid0(VALU_DEP_4) | instskip(SKIP_3) | instid1(VALU_DEP_4)
	v_dual_add_f32 v11, v11, v18 :: v_dual_cndmask_b32 v4, v20, v4
	v_permlanex16_b32 v20, v15, s1, 0xfedcba98 op_sel:[1,1]
	v_permlanex16_b32 v19, v16, s1, 0xfedcba98 op_sel:[1,1]
	v_add_f32_dpp v8, v8, v8 row_ror:8 row_mask:0xf bank_mask:0xf bound_ctrl:1
	v_cndmask_b32_e64 v11, v21, v11, s0
	s_delay_alu instid0(VALU_DEP_4) | instskip(NEXT) | instid1(VALU_DEP_2)
	v_dual_sub_f32 v18, v20, v15 :: v_dual_add_f32 v15, v15, v20
	v_dual_sub_f32 v20, v3, v10 :: v_dual_mul_f32 v11, 0x3d3504f3, v11
	v_add_f32_e32 v3, v10, v3
	s_delay_alu instid0(VALU_DEP_3)
	v_cndmask_b32_e64 v15, v18, v15, s0
	v_permlanex16_b32 v18, v14, s1, 0xfedcba98 op_sel:[1,1]
	v_sub_f32_e32 v10, v19, v16
	v_add_f32_e32 v16, v16, v19
	v_cndmask_b32_e64 v3, v20, v3, s0
	v_mul_f32_e32 v15, 0x3d3504f3, v15
	v_sub_f32_e32 v19, v18, v14
	v_add_f32_e32 v14, v14, v18
	v_permlanex16_b32 v18, v9, s1, 0xfedcba98 op_sel:[1,1]
	v_mul_f32_e32 v3, 0x3d3504f3, v3
	v_cndmask_b32_e64 v10, v10, v16, s0
	s_delay_alu instid0(VALU_DEP_4) | instskip(NEXT) | instid1(VALU_DEP_4)
	v_cndmask_b32_e64 v14, v19, v14, s0
	v_dual_sub_f32 v20, v18, v9 :: v_dual_add_f32 v9, v9, v18
	v_permlanex16_b32 v16, v12, s1, 0xfedcba98 op_sel:[1,1]
	v_permlanex16_b32 v19, v17, s1, 0xfedcba98 op_sel:[1,1]
	v_mul_f32_e32 v10, 0x3d3504f3, v10
	v_mul_f32_e32 v14, 0x3d3504f3, v14
	v_cndmask_b32_e64 v9, v20, v9, s0
	v_sub_f32_e32 v18, v16, v12
	v_add_f32_e32 v12, v12, v16
	v_dual_sub_f32 v16, v19, v17 :: v_dual_add_f32 v17, v17, v19
	v_permlanex16_b32 v19, v7, s1, 0xfedcba98 op_sel:[1,1]
	v_mul_f32_e32 v9, 0x3d3504f3, v9
	s_delay_alu instid0(VALU_DEP_4)
	v_cndmask_b32_e64 v12, v18, v12, s0
	v_permlanex16_b32 v18, v13, s1, 0xfedcba98 op_sel:[1,1]
	v_cndmask_b32_e32 v8, v22, v8, vcc_lo
	v_sub_f32_e32 v20, v19, v7
	v_add_f32_e32 v7, v7, v19
	v_cndmask_b32_e64 v16, v16, v17, s0
	v_sub_f32_e32 v19, v18, v13
	v_add_f32_e32 v13, v13, v18
	v_permlanex16_b32 v17, v8, s1, 0xfedcba98 op_sel:[1,1]
	v_cndmask_b32_e64 v7, v20, v7, s0
	v_permlanex16_b32 v21, v2, s1, 0xfedcba98 op_sel:[1,1]
	v_mul_f32_e32 v12, 0x3d3504f3, v12
	v_cndmask_b32_e64 v13, v19, v13, s0
	v_permlanex16_b32 v19, v5, s1, 0xfedcba98 op_sel:[1,1]
	v_sub_f32_e32 v18, v17, v8
	v_add_f32_e32 v8, v8, v17
	s_delay_alu instid0(VALU_DEP_4) | instskip(NEXT) | instid1(VALU_DEP_4)
	v_dual_mul_f32 v16, 0x3d3504f3, v16 :: v_dual_mul_f32 v13, 0x3d3504f3, v13
	v_dual_sub_f32 v20, v19, v5 :: v_dual_add_f32 v5, v5, v19
	v_permlanex16_b32 v17, v6, s1, 0xfedcba98 op_sel:[1,1]
	s_delay_alu instid0(VALU_DEP_4)
	v_cndmask_b32_e64 v8, v18, v8, s0
	v_permlanex16_b32 v19, v0, s1, 0xfedcba98 op_sel:[1,1]
	v_perm_b32 v3, v10, v3, 0x7060302
	v_cndmask_b32_e64 v5, v20, v5, s0
	v_sub_f32_e32 v18, v17, v6
	v_add_f32_e32 v6, v6, v17
	v_permlanex16_b32 v17, v4, s1, 0xfedcba98 op_sel:[1,1]
	s_delay_alu instid0(VALU_DEP_2) | instskip(NEXT) | instid1(VALU_DEP_2)
	v_cndmask_b32_e64 v6, v18, v6, s0
	v_sub_f32_e32 v22, v17, v4
	v_dual_add_f32 v4, v4, v17 :: v_dual_sub_f32 v17, v21, v2
	v_dual_add_f32 v2, v2, v21 :: v_dual_sub_f32 v21, v19, v0
	v_add_f32_e32 v0, v0, v19
	s_delay_alu instid0(VALU_DEP_3) | instskip(SKIP_1) | instid1(VALU_DEP_4)
	v_cndmask_b32_e64 v4, v22, v4, s0
	v_mul_f32_e32 v6, 0x3d3504f3, v6
	v_cndmask_b32_e64 v2, v17, v2, s0
	v_mul_f32_e32 v17, 0x3d3504f3, v7
	v_cndmask_b32_e64 v0, v21, v0, s0
	v_dual_mul_f32 v7, 0x3d3504f3, v8 :: v_dual_mul_f32 v8, 0x3d3504f3, v5
	s_delay_alu instid0(VALU_DEP_4) | instskip(NEXT) | instid1(VALU_DEP_3)
	v_dual_mul_f32 v19, 0x3d3504f3, v2 :: v_dual_mul_f32 v18, 0x3d3504f3, v4
	v_mul_f32_e32 v0, 0x3d3504f3, v0
	s_add_u32 s0, s4, s2
	v_perm_b32 v5, v16, v12, 0x7060302
	v_perm_b32 v4, v9, v14, 0x7060302
	v_perm_b32 v2, v15, v11, 0x7060302
	v_perm_b32 v9, v0, v19, 0x7060302
	v_perm_b32 v8, v18, v8, 0x7060302
	v_perm_b32 v7, v6, v7, 0x7060302
	v_perm_b32 v6, v13, v17, 0x7060302
	s_addc_u32 s1, s5, s3
	s_lshl_b32 s2, s12, 10
	s_and_b32 s1, s1, 0xffff
	s_mov_b32 s3, -1
	buffer_store_b128 v[2:5], v1, s[0:3], 0 offen
	;;#ASMSTART
	s_nop 0
	;;#ASMEND
	buffer_store_b128 v[6:9], v1, s[0:3], 16 offen
	;;#ASMSTART
	s_nop 0
	;;#ASMEND
	s_nop 0
	s_sendmsg sendmsg(MSG_DEALLOC_VGPRS)
	s_endpgm
	.section	.rodata,"a",@progbits
	.p2align	6, 0x0
	.amdhsa_kernel _ZN5aiter55rope_hadamard_rotate_activation_fp4quant_inplace_kernelItLi512ELb0ELi16EEEvPT_PKS1_S4_S4_PKliiiii
		.amdhsa_group_segment_fixed_size 0
		.amdhsa_private_segment_fixed_size 0
		.amdhsa_kernarg_size 60
		.amdhsa_user_sgpr_count 15
		.amdhsa_user_sgpr_dispatch_ptr 0
		.amdhsa_user_sgpr_queue_ptr 0
		.amdhsa_user_sgpr_kernarg_segment_ptr 1
		.amdhsa_user_sgpr_dispatch_id 0
		.amdhsa_user_sgpr_private_segment_size 0
		.amdhsa_wavefront_size32 1
		.amdhsa_uses_dynamic_stack 0
		.amdhsa_enable_private_segment 0
		.amdhsa_system_sgpr_workgroup_id_x 1
		.amdhsa_system_sgpr_workgroup_id_y 0
		.amdhsa_system_sgpr_workgroup_id_z 0
		.amdhsa_system_sgpr_workgroup_info 0
		.amdhsa_system_vgpr_workitem_id 0
		.amdhsa_next_free_vgpr 43
		.amdhsa_next_free_sgpr 20
		.amdhsa_reserve_vcc 1
		.amdhsa_float_round_mode_32 0
		.amdhsa_float_round_mode_16_64 0
		.amdhsa_float_denorm_mode_32 3
		.amdhsa_float_denorm_mode_16_64 3
		.amdhsa_dx10_clamp 1
		.amdhsa_ieee_mode 1
		.amdhsa_fp16_overflow 0
		.amdhsa_workgroup_processor_mode 1
		.amdhsa_memory_ordered 1
		.amdhsa_forward_progress 0
		.amdhsa_shared_vgpr_count 0
		.amdhsa_exception_fp_ieee_invalid_op 0
		.amdhsa_exception_fp_denorm_src 0
		.amdhsa_exception_fp_ieee_div_zero 0
		.amdhsa_exception_fp_ieee_overflow 0
		.amdhsa_exception_fp_ieee_underflow 0
		.amdhsa_exception_fp_ieee_inexact 0
		.amdhsa_exception_int_div_zero 0
	.end_amdhsa_kernel
	.section	.text._ZN5aiter55rope_hadamard_rotate_activation_fp4quant_inplace_kernelItLi512ELb0ELi16EEEvPT_PKS1_S4_S4_PKliiiii,"axG",@progbits,_ZN5aiter55rope_hadamard_rotate_activation_fp4quant_inplace_kernelItLi512ELb0ELi16EEEvPT_PKS1_S4_S4_PKliiiii,comdat
.Lfunc_end30:
	.size	_ZN5aiter55rope_hadamard_rotate_activation_fp4quant_inplace_kernelItLi512ELb0ELi16EEEvPT_PKS1_S4_S4_PKliiiii, .Lfunc_end30-_ZN5aiter55rope_hadamard_rotate_activation_fp4quant_inplace_kernelItLi512ELb0ELi16EEEvPT_PKS1_S4_S4_PKliiiii
                                        ; -- End function
	.section	.AMDGPU.csdata,"",@progbits
; Kernel info:
; codeLenInByte = 3548
; NumSgprs: 22
; NumVgprs: 43
; ScratchSize: 0
; MemoryBound: 0
; FloatMode: 240
; IeeeMode: 1
; LDSByteSize: 0 bytes/workgroup (compile time only)
; SGPRBlocks: 2
; VGPRBlocks: 5
; NumSGPRsForWavesPerEU: 22
; NumVGPRsForWavesPerEU: 43
; Occupancy: 16
; WaveLimiterHint : 1
; COMPUTE_PGM_RSRC2:SCRATCH_EN: 0
; COMPUTE_PGM_RSRC2:USER_SGPR: 15
; COMPUTE_PGM_RSRC2:TRAP_HANDLER: 0
; COMPUTE_PGM_RSRC2:TGID_X_EN: 1
; COMPUTE_PGM_RSRC2:TGID_Y_EN: 0
; COMPUTE_PGM_RSRC2:TGID_Z_EN: 0
; COMPUTE_PGM_RSRC2:TIDIG_COMP_CNT: 0
	.section	.text._ZN5aiter55rope_hadamard_rotate_activation_fp4quant_inplace_kernelIDF16_Li1024ELb0ELi32EEEvPT_PKS1_S4_S4_PKliiiii,"axG",@progbits,_ZN5aiter55rope_hadamard_rotate_activation_fp4quant_inplace_kernelIDF16_Li1024ELb0ELi32EEEvPT_PKS1_S4_S4_PKliiiii,comdat
	.protected	_ZN5aiter55rope_hadamard_rotate_activation_fp4quant_inplace_kernelIDF16_Li1024ELb0ELi32EEEvPT_PKS1_S4_S4_PKliiiii ; -- Begin function _ZN5aiter55rope_hadamard_rotate_activation_fp4quant_inplace_kernelIDF16_Li1024ELb0ELi32EEEvPT_PKS1_S4_S4_PKliiiii
	.globl	_ZN5aiter55rope_hadamard_rotate_activation_fp4quant_inplace_kernelIDF16_Li1024ELb0ELi32EEEvPT_PKS1_S4_S4_PKliiiii
	.p2align	8
	.type	_ZN5aiter55rope_hadamard_rotate_activation_fp4quant_inplace_kernelIDF16_Li1024ELb0ELi32EEEvPT_PKS1_S4_S4_PKliiiii,@function
_ZN5aiter55rope_hadamard_rotate_activation_fp4quant_inplace_kernelIDF16_Li1024ELb0ELi32EEEvPT_PKS1_S4_S4_PKliiiii: ; @_ZN5aiter55rope_hadamard_rotate_activation_fp4quant_inplace_kernelIDF16_Li1024ELb0ELi32EEEvPT_PKS1_S4_S4_PKliiiii
; %bb.0:
	s_clause 0x1
	s_load_b128 s[8:11], s[0:1], 0x28
	s_load_b128 s[4:7], s[0:1], 0x0
	v_lshlrev_b32_e32 v17, 6, v0
	s_mov_b32 s19, -1
	v_lshrrev_b32_e32 v67, 5, v0
	v_lshlrev_b32_e32 v18, 5, v0
                                        ; implicit-def: $vgpr50
                                        ; implicit-def: $vgpr51
                                        ; implicit-def: $vgpr41
                                        ; implicit-def: $vgpr49
                                        ; implicit-def: $vgpr52
                                        ; implicit-def: $vgpr53
                                        ; implicit-def: $vgpr40
                                        ; implicit-def: $vgpr48
                                        ; implicit-def: $vgpr54
                                        ; implicit-def: $vgpr55
                                        ; implicit-def: $vgpr39
                                        ; implicit-def: $vgpr47
                                        ; implicit-def: $vgpr56
                                        ; implicit-def: $vgpr57
                                        ; implicit-def: $vgpr38
                                        ; implicit-def: $vgpr46
                                        ; implicit-def: $vgpr58
                                        ; implicit-def: $vgpr59
                                        ; implicit-def: $vgpr37
                                        ; implicit-def: $vgpr45
                                        ; implicit-def: $vgpr60
                                        ; implicit-def: $vgpr61
                                        ; implicit-def: $vgpr36
                                        ; implicit-def: $vgpr44
                                        ; implicit-def: $vgpr62
                                        ; implicit-def: $vgpr63
                                        ; implicit-def: $vgpr35
                                        ; implicit-def: $vgpr43
                                        ; implicit-def: $vgpr64
                                        ; implicit-def: $vgpr65
                                        ; implicit-def: $vgpr34
                                        ; implicit-def: $vgpr42
	s_delay_alu instid0(VALU_DEP_2) | instskip(NEXT) | instid1(VALU_DEP_1)
	v_lshlrev_b32_e32 v19, 10, v67
	v_sub_nc_u32_e32 v66, v18, v19
	s_waitcnt lgkmcnt(0)
	s_mul_hi_i32 s3, s11, s15
	s_mul_i32 s2, s11, s15
	s_sub_i32 s12, s8, s15
	s_lshl_b64 s[2:3], s[2:3], 1
	s_sub_i32 s13, 0x400, s10
	s_min_i32 s12, s12, 1
	s_add_u32 s16, s6, s2
	s_mul_i32 s6, s12, s11
	s_addc_u32 s7, s7, s3
	s_lshl_b32 s18, s6, 1
	s_and_b32 s17, s7, 0xffff
	s_clause 0x3
	buffer_load_b128 v[13:16], v17, s[16:19], 0 offen
	buffer_load_b128 v[9:12], v17, s[16:19], 16 offen
	;; [unrolled: 1-line block ×4, first 2 shown]
	v_cmp_le_i32_e32 vcc_lo, s13, v66
	s_waitcnt vmcnt(3)
	v_lshrrev_b32_e32 v33, 16, v13
	v_lshrrev_b32_e32 v32, 16, v14
	v_lshrrev_b32_e32 v31, 16, v15
	v_lshrrev_b32_e32 v30, 16, v16
	s_waitcnt vmcnt(2)
	v_lshrrev_b32_e32 v29, 16, v9
	v_lshrrev_b32_e32 v28, 16, v10
	v_lshrrev_b32_e32 v27, 16, v11
	v_lshrrev_b32_e32 v26, 16, v12
	;; [unrolled: 5-line block ×4, first 2 shown]
	s_and_saveexec_b32 s6, vcc_lo
	s_delay_alu instid0(SALU_CYCLE_1)
	s_xor_b32 s6, exec_lo, s6
	s_cbranch_execz .LBB31_2
; %bb.1:
	v_cvt_f32_f16_e32 v33, v33
	v_add_nc_u32_e32 v34, s15, v67
	s_add_i32 s7, s8, -1
	v_cvt_f32_f16_e32 v31, v31
	s_load_b64 s[14:15], s[0:1], 0x20
	v_subrev_nc_u32_e32 v37, s13, v66
	v_cmp_gt_i32_e32 vcc_lo, s8, v34
	v_cvt_f32_f16_e32 v29, v29
	v_cvt_f32_f16_e32 v27, v27
	;; [unrolled: 1-line block ×3, first 2 shown]
	v_lshrrev_b32_e32 v38, 31, v37
	v_cndmask_b32_e32 v34, s7, v34, vcc_lo
	s_ctz_i32_b32 s7, s9
	v_cvt_f32_f16_e32 v23, v23
	v_cvt_f32_f16_e32 v21, v21
	;; [unrolled: 1-line block ×3, first 2 shown]
	v_ashrrev_i32_e32 v34, s7, v34
	s_lshr_b32 s7, s10, 31
	v_cvt_f32_f16_e32 v32, v32
	s_add_i32 s7, s10, s7
	s_load_b128 s[8:11], s[0:1], 0x10
	v_ashrrev_i32_e32 v35, 31, v34
	s_ashr_i32 s0, s7, 1
	v_cvt_f32_f16_e32 v30, v30
	s_ashr_i32 s1, s0, 31
	v_cvt_f32_f16_e32 v28, v28
	v_lshlrev_b64 v[34:35], 3, v[34:35]
	v_cvt_f32_f16_e32 v26, v26
	v_cvt_f32_f16_e32 v24, v24
	;; [unrolled: 1-line block ×5, first 2 shown]
	s_waitcnt lgkmcnt(0)
	v_add_co_u32 v34, vcc_lo, s14, v34
	v_add_co_ci_u32_e32 v35, vcc_lo, s15, v35, vcc_lo
	global_load_b64 v[34:35], v[34:35], off
	s_waitcnt vmcnt(0)
	v_mul_lo_u32 v39, v35, s0
	v_mul_lo_u32 v40, v34, s1
	v_mad_u64_u32 v[35:36], null, v34, s0, 0
	v_add_nc_u32_e32 v34, v37, v38
	s_delay_alu instid0(VALU_DEP_1) | instskip(NEXT) | instid1(VALU_DEP_3)
	v_ashrrev_i32_e32 v37, 1, v34
	v_add3_u32 v36, v36, v40, v39
	s_delay_alu instid0(VALU_DEP_2) | instskip(NEXT) | instid1(VALU_DEP_2)
	v_ashrrev_i32_e32 v38, 31, v37
	v_lshlrev_b64 v[34:35], 1, v[35:36]
	s_delay_alu instid0(VALU_DEP_2) | instskip(NEXT) | instid1(VALU_DEP_2)
	v_lshlrev_b64 v[36:37], 1, v[37:38]
	v_add_co_u32 v38, vcc_lo, s8, v34
	s_delay_alu instid0(VALU_DEP_3) | instskip(SKIP_2) | instid1(VALU_DEP_4)
	v_add_co_ci_u32_e32 v39, vcc_lo, s9, v35, vcc_lo
	v_add_co_u32 v40, vcc_lo, s10, v34
	v_add_co_ci_u32_e32 v41, vcc_lo, s11, v35, vcc_lo
	v_add_co_u32 v34, vcc_lo, v38, v36
	s_delay_alu instid0(VALU_DEP_4) | instskip(NEXT) | instid1(VALU_DEP_4)
	v_add_co_ci_u32_e32 v35, vcc_lo, v39, v37, vcc_lo
	v_add_co_u32 v36, vcc_lo, v40, v36
	s_delay_alu instid0(VALU_DEP_4)
	v_add_co_ci_u32_e32 v37, vcc_lo, v41, v37, vcc_lo
	global_load_b128 v[50:53], v[34:35], off
	global_load_b128 v[54:57], v[36:37], off
	global_load_b128 v[66:69], v[34:35], off offset:16
	global_load_b128 v[70:73], v[36:37], off offset:16
	s_waitcnt vmcnt(3)
	v_cvt_f32_f16_e32 v34, v50
	s_waitcnt vmcnt(2)
	v_cvt_f32_f16_e32 v35, v54
	v_lshrrev_b32_e32 v36, 16, v50
	v_lshrrev_b32_e32 v37, 16, v54
	v_cvt_f32_f16_e32 v38, v51
	v_cvt_f32_f16_e32 v39, v55
	v_lshrrev_b32_e32 v40, 16, v51
	v_lshrrev_b32_e32 v41, 16, v55
	v_cvt_f32_f16_e32 v42, v52
	;; [unrolled: 4-line block ×3, first 2 shown]
	v_cvt_f32_f16_e32 v47, v57
	v_lshrrev_b32_e32 v48, 16, v53
	v_lshrrev_b32_e32 v49, 16, v57
	s_waitcnt vmcnt(1)
	v_cvt_f32_f16_e32 v58, v66
	s_waitcnt vmcnt(0)
	v_cvt_f32_f16_e32 v59, v70
	v_lshrrev_b32_e32 v60, 16, v66
	v_lshrrev_b32_e32 v61, 16, v70
	v_cvt_f32_f16_e32 v62, v67
	v_cvt_f32_f16_e32 v63, v71
	v_lshrrev_b32_e32 v64, 16, v67
	v_lshrrev_b32_e32 v65, 16, v71
	v_cvt_f32_f16_e32 v74, v68
	;; [unrolled: 4-line block ×3, first 2 shown]
	v_cvt_f32_f16_e32 v79, v73
	v_lshrrev_b32_e32 v80, 16, v69
	v_lshrrev_b32_e32 v81, 16, v73
	v_mul_f32_e32 v35, v35, v33
	v_mul_f32_e32 v33, v34, v33
	v_cvt_f32_f16_e32 v36, v36
	v_cvt_f32_f16_e32 v37, v37
	v_mul_f32_e32 v39, v39, v31
	v_mul_f32_e32 v31, v38, v31
	v_cvt_f32_f16_e32 v38, v40
	v_cvt_f32_f16_e32 v40, v41
	;; [unrolled: 4-line block ×4, first 2 shown]
	v_mul_f32_e32 v49, v59, v25
	v_cvt_f32_f16_e32 v59, v61
	v_cvt_f32_f16_e32 v61, v64
	;; [unrolled: 1-line block ×3, first 2 shown]
	v_mul_f32_e32 v25, v58, v25
	v_cvt_f32_f16_e32 v58, v60
	v_mul_f32_e32 v60, v63, v23
	v_mul_f32_e32 v63, v75, v21
	v_dual_mul_f32 v21, v74, v21 :: v_dual_mul_f32 v74, v79, v19
	v_mul_f32_e32 v19, v78, v19
	v_cvt_f32_f16_e32 v75, v80
	v_mul_f32_e32 v23, v62, v23
	v_cvt_f32_f16_e32 v62, v65
	v_cvt_f32_f16_e32 v65, v77
	;; [unrolled: 1-line block ×3, first 2 shown]
	v_fma_mix_f32 v42, v50, v13, -v35 op_sel_hi:[1,1,0]
	v_fma_mix_f32 v34, v54, v13, v33 op_sel_hi:[1,1,0]
	v_mul_f32_e32 v13, v37, v32
	v_mul_f32_e32 v32, v36, v32
	v_fma_mix_f32 v43, v51, v15, -v39 op_sel_hi:[1,1,0]
	v_fma_mix_f32 v35, v55, v15, v31 op_sel_hi:[1,1,0]
	v_mul_f32_e32 v15, v40, v30
	v_mul_f32_e32 v30, v38, v30
	;; [unrolled: 4-line block ×3, first 2 shown]
	v_fma_mix_f32 v45, v53, v11, -v47 op_sel_hi:[1,1,0]
	v_fma_mix_f32 v47, v67, v7, -v60 op_sel_hi:[1,1,0]
	v_fma_mix_f32 v39, v71, v7, v23 op_sel_hi:[1,1,0]
	v_mul_f32_e32 v7, v62, v22
	v_mul_f32_e32 v22, v61, v22
	v_fma_mix_f32 v37, v57, v11, v27 op_sel_hi:[1,1,0]
	v_mul_f32_e32 v11, v48, v26
	v_mul_f32_e32 v26, v46, v26
	v_fma_mix_f32 v46, v66, v5, -v49 op_sel_hi:[1,1,0]
	v_fma_mix_f32 v48, v68, v1, -v63 op_sel_hi:[1,1,0]
	v_fma_mix_f32 v40, v72, v1, v21 op_sel_hi:[1,1,0]
	v_mul_f32_e32 v1, v65, v20
	v_mul_f32_e32 v20, v64, v20
	v_fma_mix_f32 v38, v70, v5, v25 op_sel_hi:[1,1,0]
	v_mul_f32_e32 v5, v59, v24
	v_mul_f32_e32 v24, v58, v24
	v_fma_mix_f32 v49, v69, v3, -v74 op_sel_hi:[1,1,0]
	v_fma_mix_f32 v41, v73, v3, v19 op_sel_hi:[1,1,0]
	v_mul_f32_e32 v3, v76, v18
	v_mul_f32_e32 v18, v75, v18
	v_fma_mix_f32 v65, v50, v14, -v13 op_sel:[1,0,0] op_sel_hi:[1,1,0]
	v_fma_mix_f32 v64, v54, v14, v32 op_sel:[1,0,0] op_sel_hi:[1,1,0]
	v_fma_mix_f32 v63, v51, v16, -v15 op_sel:[1,0,0] op_sel_hi:[1,1,0]
	v_fma_mix_f32 v62, v55, v16, v30 op_sel:[1,0,0] op_sel_hi:[1,1,0]
	;; [unrolled: 2-line block ×8, first 2 shown]
                                        ; implicit-def: $vgpr13_vgpr14_vgpr15_vgpr16
                                        ; implicit-def: $vgpr9_vgpr10_vgpr11_vgpr12
                                        ; implicit-def: $vgpr5_vgpr6_vgpr7_vgpr8
                                        ; implicit-def: $vgpr1_vgpr2_vgpr3_vgpr4
                                        ; implicit-def: $vgpr33
                                        ; implicit-def: $vgpr32
                                        ; implicit-def: $vgpr31
                                        ; implicit-def: $vgpr30
                                        ; implicit-def: $vgpr29
                                        ; implicit-def: $vgpr28
                                        ; implicit-def: $vgpr27
                                        ; implicit-def: $vgpr26
                                        ; implicit-def: $vgpr25
                                        ; implicit-def: $vgpr24
                                        ; implicit-def: $vgpr23
                                        ; implicit-def: $vgpr22
                                        ; implicit-def: $vgpr21
                                        ; implicit-def: $vgpr20
                                        ; implicit-def: $vgpr19
                                        ; implicit-def: $vgpr18
.LBB31_2:
	s_and_not1_saveexec_b32 s0, s6
	s_cbranch_execz .LBB31_4
; %bb.3:
	v_cvt_f32_f16_e32 v34, v33
	v_cvt_f32_f16_e32 v42, v13
	;; [unrolled: 1-line block ×32, first 2 shown]
.LBB31_4:
	s_or_b32 exec_lo, exec_lo, s0
	v_dual_add_f32 v1, v42, v34 :: v_dual_sub_f32 v4, v65, v64
	v_dual_sub_f32 v2, v42, v34 :: v_dual_add_f32 v3, v65, v64
	v_dual_add_f32 v5, v43, v35 :: v_dual_sub_f32 v10, v44, v36
	v_dual_sub_f32 v6, v43, v35 :: v_dual_add_f32 v9, v44, v36
	;; [unrolled: 2-line block ×8, first 2 shown]
	v_add_f32_e32 v34, v1, v3
	v_sub_f32_e32 v1, v1, v3
	v_add_f32_e32 v3, v2, v4
	v_sub_f32_e32 v2, v2, v4
	;; [unrolled: 2-line block ×32, first 2 shown]
	v_add_f32_e32 v31, v33, v6
	v_dual_sub_f32 v6, v33, v6 :: v_dual_add_f32 v33, v34, v12
	v_sub_f32_e32 v12, v34, v12
	v_add_f32_e32 v34, v7, v15
	v_sub_f32_e32 v7, v7, v15
	v_add_f32_e32 v15, v5, v13
	;; [unrolled: 2-line block ×7, first 2 shown]
	v_dual_sub_f32 v14, v14, v23 :: v_dual_add_f32 v23, v21, v29
	v_sub_f32_e32 v21, v21, v29
	v_add_f32_e32 v29, v24, v32
	v_sub_f32_e32 v24, v24, v32
	v_add_f32_e32 v32, v22, v30
	;; [unrolled: 2-line block ×7, first 2 shown]
	v_dual_sub_f32 v10, v31, v10 :: v_dual_add_f32 v31, v33, v23
	v_sub_f32_e32 v23, v33, v23
	v_add_f32_e32 v33, v34, v29
	v_dual_sub_f32 v29, v34, v29 :: v_dual_add_f32 v34, v15, v32
	v_dual_sub_f32 v15, v15, v32 :: v_dual_add_f32 v32, v13, v30
	;; [unrolled: 1-line block ×5, first 2 shown]
	v_sub_f32_e32 v9, v9, v26
	v_add_f32_e32 v26, v6, v14
	v_sub_f32_e32 v6, v6, v14
	v_add_f32_e32 v14, v12, v21
	v_dual_sub_f32 v12, v12, v21 :: v_dual_add_f32 v21, v7, v24
	v_sub_f32_e32 v7, v7, v24
	v_sub_f32_dpp v35, v27, v27 quad_perm:[1,0,3,2] row_mask:0xf bank_mask:0xf bound_ctrl:1
	v_add_f32_dpp v27, v27, v27 quad_perm:[1,0,3,2] row_mask:0xf bank_mask:0xf bound_ctrl:1
	v_add_f32_e32 v24, v5, v22
	v_sub_f32_e32 v5, v5, v22
	v_sub_f32_dpp v36, v31, v31 quad_perm:[1,0,3,2] row_mask:0xf bank_mask:0xf bound_ctrl:1
	v_add_f32_dpp v31, v31, v31 quad_perm:[1,0,3,2] row_mask:0xf bank_mask:0xf bound_ctrl:1
	v_sub_f32_dpp v37, v33, v33 quad_perm:[1,0,3,2] row_mask:0xf bank_mask:0xf bound_ctrl:1
	v_add_f32_dpp v33, v33, v33 quad_perm:[1,0,3,2] row_mask:0xf bank_mask:0xf bound_ctrl:1
	v_add_f32_e32 v22, v4, v16
	v_sub_f32_dpp v38, v34, v34 quad_perm:[1,0,3,2] row_mask:0xf bank_mask:0xf bound_ctrl:1
	v_sub_f32_e32 v4, v4, v16
	v_add_f32_e32 v16, v3, v20
	v_dual_sub_f32 v3, v3, v20 :: v_dual_add_f32 v20, v1, v18
	v_dual_sub_f32 v1, v1, v18 :: v_dual_add_f32 v18, v2, v19
	v_dual_sub_f32 v2, v2, v19 :: v_dual_and_b32 v19, 1, v0
	s_mov_b32 s1, 0x76543210
	s_mov_b32 s6, 0x3d000000
	s_delay_alu instid0(VALU_DEP_1)
	v_cmp_eq_u32_e32 vcc_lo, 0, v19
	v_add_f32_dpp v19, v34, v34 quad_perm:[1,0,3,2] row_mask:0xf bank_mask:0xf bound_ctrl:1
	v_sub_f32_dpp v34, v32, v32 quad_perm:[1,0,3,2] row_mask:0xf bank_mask:0xf bound_ctrl:1
	v_add_f32_dpp v32, v32, v32 quad_perm:[1,0,3,2] row_mask:0xf bank_mask:0xf bound_ctrl:1
	v_cndmask_b32_e32 v27, v35, v27, vcc_lo
	v_sub_f32_dpp v35, v25, v25 quad_perm:[1,0,3,2] row_mask:0xf bank_mask:0xf bound_ctrl:1
	v_add_f32_dpp v25, v25, v25 quad_perm:[1,0,3,2] row_mask:0xf bank_mask:0xf bound_ctrl:1
	v_cndmask_b32_e32 v19, v38, v19, vcc_lo
	;; [unrolled: 3-line block ×3, first 2 shown]
	v_cndmask_b32_e32 v25, v35, v25, vcc_lo
	v_sub_f32_dpp v35, v24, v24 quad_perm:[1,0,3,2] row_mask:0xf bank_mask:0xf bound_ctrl:1
	v_add_f32_dpp v24, v24, v24 quad_perm:[1,0,3,2] row_mask:0xf bank_mask:0xf bound_ctrl:1
	v_cndmask_b32_e32 v33, v37, v33, vcc_lo
	v_sub_f32_dpp v36, v28, v28 quad_perm:[1,0,3,2] row_mask:0xf bank_mask:0xf bound_ctrl:1
	v_add_f32_dpp v28, v28, v28 quad_perm:[1,0,3,2] row_mask:0xf bank_mask:0xf bound_ctrl:1
	v_sub_f32_dpp v37, v26, v26 quad_perm:[1,0,3,2] row_mask:0xf bank_mask:0xf bound_ctrl:1
	v_cndmask_b32_e32 v24, v35, v24, vcc_lo
	v_sub_f32_dpp v35, v10, v10 quad_perm:[1,0,3,2] row_mask:0xf bank_mask:0xf bound_ctrl:1
	v_add_f32_dpp v10, v10, v10 quad_perm:[1,0,3,2] row_mask:0xf bank_mask:0xf bound_ctrl:1
	v_add_f32_dpp v26, v26, v26 quad_perm:[1,0,3,2] row_mask:0xf bank_mask:0xf bound_ctrl:1
	v_cndmask_b32_e32 v28, v36, v28, vcc_lo
	v_sub_f32_dpp v36, v22, v22 quad_perm:[1,0,3,2] row_mask:0xf bank_mask:0xf bound_ctrl:1
	v_add_f32_dpp v22, v22, v22 quad_perm:[1,0,3,2] row_mask:0xf bank_mask:0xf bound_ctrl:1
	v_cndmask_b32_e32 v10, v35, v10, vcc_lo
	v_sub_f32_dpp v35, v8, v8 quad_perm:[1,0,3,2] row_mask:0xf bank_mask:0xf bound_ctrl:1
	v_add_f32_dpp v8, v8, v8 quad_perm:[1,0,3,2] row_mask:0xf bank_mask:0xf bound_ctrl:1
	v_sub_f32_dpp v39, v33, v33 quad_perm:[2,3,0,1] row_mask:0xf bank_mask:0xf bound_ctrl:1
	v_add_f32_dpp v33, v33, v33 quad_perm:[2,3,0,1] row_mask:0xf bank_mask:0xf bound_ctrl:1
	s_delay_alu instid0(VALU_DEP_3)
	v_cndmask_b32_e32 v8, v35, v8, vcc_lo
	v_sub_f32_dpp v35, v7, v7 quad_perm:[1,0,3,2] row_mask:0xf bank_mask:0xf bound_ctrl:1
	v_add_f32_dpp v7, v7, v7 quad_perm:[1,0,3,2] row_mask:0xf bank_mask:0xf bound_ctrl:1
	v_cndmask_b32_e32 v14, v38, v14, vcc_lo
	v_sub_f32_dpp v38, v20, v20 quad_perm:[1,0,3,2] row_mask:0xf bank_mask:0xf bound_ctrl:1
	v_add_f32_dpp v20, v20, v20 quad_perm:[1,0,3,2] row_mask:0xf bank_mask:0xf bound_ctrl:1
	s_delay_alu instid0(VALU_DEP_1)
	v_dual_cndmask_b32 v7, v35, v7 :: v_dual_cndmask_b32 v20, v38, v20
	v_sub_f32_dpp v38, v15, v15 quad_perm:[1,0,3,2] row_mask:0xf bank_mask:0xf bound_ctrl:1
	v_add_f32_dpp v15, v15, v15 quad_perm:[1,0,3,2] row_mask:0xf bank_mask:0xf bound_ctrl:1
	v_cndmask_b32_e32 v26, v37, v26, vcc_lo
	v_sub_f32_dpp v37, v16, v16 quad_perm:[1,0,3,2] row_mask:0xf bank_mask:0xf bound_ctrl:1
	v_add_f32_dpp v16, v16, v16 quad_perm:[1,0,3,2] row_mask:0xf bank_mask:0xf bound_ctrl:1
	s_delay_alu instid0(VALU_DEP_4) | instskip(SKIP_2) | instid1(VALU_DEP_1)
	v_cndmask_b32_e32 v15, v38, v15, vcc_lo
	v_sub_f32_dpp v38, v6, v6 quad_perm:[1,0,3,2] row_mask:0xf bank_mask:0xf bound_ctrl:1
	v_add_f32_dpp v6, v6, v6 quad_perm:[1,0,3,2] row_mask:0xf bank_mask:0xf bound_ctrl:1
	v_cndmask_b32_e32 v6, v38, v6, vcc_lo
	v_sub_f32_dpp v38, v3, v3 quad_perm:[1,0,3,2] row_mask:0xf bank_mask:0xf bound_ctrl:1
	v_add_f32_dpp v3, v3, v3 quad_perm:[1,0,3,2] row_mask:0xf bank_mask:0xf bound_ctrl:1
	;; [unrolled: 3-line block ×4, first 2 shown]
	v_cndmask_b32_e32 v3, v38, v3, vcc_lo
	v_cndmask_b32_e32 v23, v36, v23, vcc_lo
	v_sub_f32_dpp v36, v11, v11 quad_perm:[1,0,3,2] row_mask:0xf bank_mask:0xf bound_ctrl:1
	v_add_f32_dpp v11, v11, v11 quad_perm:[1,0,3,2] row_mask:0xf bank_mask:0xf bound_ctrl:1
	v_cndmask_b32_e32 v30, v34, v30, vcc_lo
	v_sub_f32_dpp v34, v21, v21 quad_perm:[1,0,3,2] row_mask:0xf bank_mask:0xf bound_ctrl:1
	v_add_f32_dpp v21, v21, v21 quad_perm:[1,0,3,2] row_mask:0xf bank_mask:0xf bound_ctrl:1
	v_sub_f32_dpp v38, v31, v31 quad_perm:[2,3,0,1] row_mask:0xf bank_mask:0xf bound_ctrl:1
	v_cndmask_b32_e32 v11, v36, v11, vcc_lo
	v_sub_f32_dpp v36, v5, v5 quad_perm:[1,0,3,2] row_mask:0xf bank_mask:0xf bound_ctrl:1
	v_add_f32_dpp v5, v5, v5 quad_perm:[1,0,3,2] row_mask:0xf bank_mask:0xf bound_ctrl:1
	v_cndmask_b32_e32 v16, v37, v16, vcc_lo
	v_sub_f32_dpp v37, v29, v29 quad_perm:[1,0,3,2] row_mask:0xf bank_mask:0xf bound_ctrl:1
	v_add_f32_dpp v29, v29, v29 quad_perm:[1,0,3,2] row_mask:0xf bank_mask:0xf bound_ctrl:1
	v_cndmask_b32_e32 v21, v34, v21, vcc_lo
	v_dual_cndmask_b32 v5, v36, v5 :: v_dual_and_b32 v36, 2, v0
	v_add_f32_dpp v31, v31, v31 quad_perm:[2,3,0,1] row_mask:0xf bank_mask:0xf bound_ctrl:1
	s_delay_alu instid0(VALU_DEP_4)
	v_cndmask_b32_e32 v29, v37, v29, vcc_lo
	v_sub_f32_dpp v34, v18, v18 quad_perm:[1,0,3,2] row_mask:0xf bank_mask:0xf bound_ctrl:1
	v_add_f32_dpp v18, v18, v18 quad_perm:[1,0,3,2] row_mask:0xf bank_mask:0xf bound_ctrl:1
	v_cmp_eq_u32_e64 s0, 0, v36
	v_sub_f32_dpp v37, v9, v9 quad_perm:[1,0,3,2] row_mask:0xf bank_mask:0xf bound_ctrl:1
	v_add_f32_dpp v9, v9, v9 quad_perm:[1,0,3,2] row_mask:0xf bank_mask:0xf bound_ctrl:1
	s_delay_alu instid0(VALU_DEP_4)
	v_cndmask_b32_e32 v18, v34, v18, vcc_lo
	v_sub_f32_dpp v34, v13, v13 quad_perm:[1,0,3,2] row_mask:0xf bank_mask:0xf bound_ctrl:1
	v_add_f32_dpp v13, v13, v13 quad_perm:[1,0,3,2] row_mask:0xf bank_mask:0xf bound_ctrl:1
	v_cndmask_b32_e64 v31, v38, v31, s0
	v_cndmask_b32_e32 v9, v37, v9, vcc_lo
	v_sub_f32_dpp v37, v4, v4 quad_perm:[1,0,3,2] row_mask:0xf bank_mask:0xf bound_ctrl:1
	v_add_f32_dpp v4, v4, v4 quad_perm:[1,0,3,2] row_mask:0xf bank_mask:0xf bound_ctrl:1
	v_cndmask_b32_e32 v13, v34, v13, vcc_lo
	v_sub_f32_dpp v34, v12, v12 quad_perm:[1,0,3,2] row_mask:0xf bank_mask:0xf bound_ctrl:1
	v_add_f32_dpp v12, v12, v12 quad_perm:[1,0,3,2] row_mask:0xf bank_mask:0xf bound_ctrl:1
	v_sub_f32_dpp v38, v28, v28 quad_perm:[2,3,0,1] row_mask:0xf bank_mask:0xf bound_ctrl:1
	v_cndmask_b32_e32 v4, v37, v4, vcc_lo
	v_sub_f32_dpp v37, v27, v27 quad_perm:[2,3,0,1] row_mask:0xf bank_mask:0xf bound_ctrl:1
	v_add_f32_dpp v27, v27, v27 quad_perm:[2,3,0,1] row_mask:0xf bank_mask:0xf bound_ctrl:1
	v_cndmask_b32_e32 v12, v34, v12, vcc_lo
	v_sub_f32_dpp v34, v1, v1 quad_perm:[1,0,3,2] row_mask:0xf bank_mask:0xf bound_ctrl:1
	v_add_f32_dpp v1, v1, v1 quad_perm:[1,0,3,2] row_mask:0xf bank_mask:0xf bound_ctrl:1
	v_add_f32_dpp v28, v28, v28 quad_perm:[2,3,0,1] row_mask:0xf bank_mask:0xf bound_ctrl:1
	v_cndmask_b32_e64 v27, v37, v27, s0
	v_sub_f32_dpp v37, v25, v25 quad_perm:[2,3,0,1] row_mask:0xf bank_mask:0xf bound_ctrl:1
	v_add_f32_dpp v25, v25, v25 quad_perm:[2,3,0,1] row_mask:0xf bank_mask:0xf bound_ctrl:1
	v_cndmask_b32_e32 v1, v34, v1, vcc_lo
	v_sub_f32_dpp v34, v19, v19 quad_perm:[2,3,0,1] row_mask:0xf bank_mask:0xf bound_ctrl:1
	v_add_f32_dpp v19, v19, v19 quad_perm:[2,3,0,1] row_mask:0xf bank_mask:0xf bound_ctrl:1
	v_cndmask_b32_e64 v33, v39, v33, s0
	v_cndmask_b32_e64 v25, v37, v25, s0
	v_sub_f32_dpp v37, v24, v24 quad_perm:[2,3,0,1] row_mask:0xf bank_mask:0xf bound_ctrl:1
	v_add_f32_dpp v24, v24, v24 quad_perm:[2,3,0,1] row_mask:0xf bank_mask:0xf bound_ctrl:1
	v_cndmask_b32_e64 v19, v34, v19, s0
	v_sub_f32_dpp v34, v26, v26 quad_perm:[2,3,0,1] row_mask:0xf bank_mask:0xf bound_ctrl:1
	v_add_f32_dpp v26, v26, v26 quad_perm:[2,3,0,1] row_mask:0xf bank_mask:0xf bound_ctrl:1
	v_cndmask_b32_e64 v28, v38, v28, s0
	v_cndmask_b32_e64 v24, v37, v24, s0
	v_sub_f32_dpp v37, v10, v10 quad_perm:[2,3,0,1] row_mask:0xf bank_mask:0xf bound_ctrl:1
	v_add_f32_dpp v10, v10, v10 quad_perm:[2,3,0,1] row_mask:0xf bank_mask:0xf bound_ctrl:1
	v_cndmask_b32_e64 v26, v34, v26, s0
	v_sub_f32_dpp v34, v16, v16 quad_perm:[2,3,0,1] row_mask:0xf bank_mask:0xf bound_ctrl:1
	v_add_f32_dpp v16, v16, v16 quad_perm:[2,3,0,1] row_mask:0xf bank_mask:0xf bound_ctrl:1
	v_sub_f32_dpp v38, v22, v22 quad_perm:[2,3,0,1] row_mask:0xf bank_mask:0xf bound_ctrl:1
	v_add_f32_dpp v22, v22, v22 quad_perm:[2,3,0,1] row_mask:0xf bank_mask:0xf bound_ctrl:1
	v_cndmask_b32_e64 v10, v37, v10, s0
	v_sub_f32_dpp v35, v2, v2 quad_perm:[1,0,3,2] row_mask:0xf bank_mask:0xf bound_ctrl:1
	v_cndmask_b32_e64 v16, v34, v16, s0
	v_sub_f32_dpp v34, v29, v29 quad_perm:[2,3,0,1] row_mask:0xf bank_mask:0xf bound_ctrl:1
	v_add_f32_dpp v29, v29, v29 quad_perm:[2,3,0,1] row_mask:0xf bank_mask:0xf bound_ctrl:1
	v_add_f32_dpp v2, v2, v2 quad_perm:[1,0,3,2] row_mask:0xf bank_mask:0xf bound_ctrl:1
	v_cndmask_b32_e64 v22, v38, v22, s0
	v_sub_f32_dpp v38, v23, v23 quad_perm:[2,3,0,1] row_mask:0xf bank_mask:0xf bound_ctrl:1
	v_add_f32_dpp v23, v23, v23 quad_perm:[2,3,0,1] row_mask:0xf bank_mask:0xf bound_ctrl:1
	v_cndmask_b32_e64 v29, v34, v29, s0
	v_sub_f32_dpp v34, v9, v9 quad_perm:[2,3,0,1] row_mask:0xf bank_mask:0xf bound_ctrl:1
	v_add_f32_dpp v9, v9, v9 quad_perm:[2,3,0,1] row_mask:0xf bank_mask:0xf bound_ctrl:1
	s_delay_alu instid0(VALU_DEP_4) | instskip(SKIP_2) | instid1(VALU_DEP_4)
	v_cndmask_b32_e64 v23, v38, v23, s0
	v_sub_f32_dpp v38, v11, v11 quad_perm:[2,3,0,1] row_mask:0xf bank_mask:0xf bound_ctrl:1
	v_add_f32_dpp v11, v11, v11 quad_perm:[2,3,0,1] row_mask:0xf bank_mask:0xf bound_ctrl:1
	v_cndmask_b32_e64 v9, v34, v9, s0
	v_sub_f32_dpp v34, v4, v4 quad_perm:[2,3,0,1] row_mask:0xf bank_mask:0xf bound_ctrl:1
	v_add_f32_dpp v4, v4, v4 quad_perm:[2,3,0,1] row_mask:0xf bank_mask:0xf bound_ctrl:1
	s_delay_alu instid0(VALU_DEP_4) | instskip(SKIP_2) | instid1(VALU_DEP_4)
	v_cndmask_b32_e64 v11, v38, v11, s0
	v_sub_f32_dpp v38, v5, v5 quad_perm:[2,3,0,1] row_mask:0xf bank_mask:0xf bound_ctrl:1
	v_add_f32_dpp v5, v5, v5 quad_perm:[2,3,0,1] row_mask:0xf bank_mask:0xf bound_ctrl:1
	v_cndmask_b32_e64 v4, v34, v4, s0
	v_mov_b32_dpp v34, v31 row_shl:4 row_mask:0xf bank_mask:0x5 bound_ctrl:1
	s_delay_alu instid0(VALU_DEP_3) | instskip(NEXT) | instid1(VALU_DEP_2)
	v_cndmask_b32_e64 v5, v38, v5, s0
	v_mov_b32_dpp v34, v31 row_shr:4 row_mask:0xf bank_mask:0xa bound_ctrl:1
	s_delay_alu instid0(VALU_DEP_1) | instskip(SKIP_4) | instid1(VALU_DEP_2)
	v_sub_f32_e32 v39, v34, v31
	v_add_f32_e32 v31, v31, v34
	v_sub_f32_dpp v37, v8, v8 quad_perm:[2,3,0,1] row_mask:0xf bank_mask:0xf bound_ctrl:1
	v_add_f32_dpp v8, v8, v8 quad_perm:[2,3,0,1] row_mask:0xf bank_mask:0xf bound_ctrl:1
	v_mov_b32_dpp v34, v19 row_shl:4 row_mask:0xf bank_mask:0x5 bound_ctrl:1
	v_cndmask_b32_e64 v8, v37, v8, s0
	v_sub_f32_dpp v37, v7, v7 quad_perm:[2,3,0,1] row_mask:0xf bank_mask:0xf bound_ctrl:1
	v_add_f32_dpp v7, v7, v7 quad_perm:[2,3,0,1] row_mask:0xf bank_mask:0xf bound_ctrl:1
	s_delay_alu instid0(VALU_DEP_4)
	v_mov_b32_dpp v34, v19 row_shr:4 row_mask:0xf bank_mask:0xa bound_ctrl:1
	v_cndmask_b32_e32 v2, v35, v2, vcc_lo
	v_sub_f32_dpp v35, v32, v32 quad_perm:[2,3,0,1] row_mask:0xf bank_mask:0xf bound_ctrl:1
	v_add_f32_dpp v32, v32, v32 quad_perm:[2,3,0,1] row_mask:0xf bank_mask:0xf bound_ctrl:1
	v_cndmask_b32_e64 v7, v37, v7, s0
	v_mov_b32_dpp v37, v27 row_shl:4 row_mask:0xf bank_mask:0x5 bound_ctrl:1
	s_delay_alu instid0(VALU_DEP_3) | instskip(SKIP_2) | instid1(VALU_DEP_4)
	v_cndmask_b32_e64 v32, v35, v32, s0
	v_sub_f32_dpp v35, v14, v14 quad_perm:[2,3,0,1] row_mask:0xf bank_mask:0xf bound_ctrl:1
	v_add_f32_dpp v14, v14, v14 quad_perm:[2,3,0,1] row_mask:0xf bank_mask:0xf bound_ctrl:1
	v_mov_b32_dpp v37, v27 row_shr:4 row_mask:0xf bank_mask:0xa bound_ctrl:1
	s_delay_alu instid0(VALU_DEP_2) | instskip(NEXT) | instid1(VALU_DEP_2)
	v_cndmask_b32_e64 v14, v35, v14, s0
	v_dual_sub_f32 v38, v37, v27 :: v_dual_add_f32 v27, v27, v37
	v_sub_f32_dpp v35, v20, v20 quad_perm:[2,3,0,1] row_mask:0xf bank_mask:0xf bound_ctrl:1
	v_add_f32_dpp v20, v20, v20 quad_perm:[2,3,0,1] row_mask:0xf bank_mask:0xf bound_ctrl:1
	v_mov_b32_dpp v37, v33 row_shl:4 row_mask:0xf bank_mask:0x5 bound_ctrl:1
	s_delay_alu instid0(VALU_DEP_2) | instskip(SKIP_2) | instid1(VALU_DEP_4)
	v_cndmask_b32_e64 v20, v35, v20, s0
	v_sub_f32_dpp v35, v15, v15 quad_perm:[2,3,0,1] row_mask:0xf bank_mask:0xf bound_ctrl:1
	v_add_f32_dpp v15, v15, v15 quad_perm:[2,3,0,1] row_mask:0xf bank_mask:0xf bound_ctrl:1
	v_mov_b32_dpp v37, v33 row_shr:4 row_mask:0xf bank_mask:0xa bound_ctrl:1
	s_delay_alu instid0(VALU_DEP_2) | instskip(SKIP_2) | instid1(VALU_DEP_1)
	v_cndmask_b32_e64 v15, v35, v15, s0
	v_sub_f32_dpp v35, v6, v6 quad_perm:[2,3,0,1] row_mask:0xf bank_mask:0xf bound_ctrl:1
	v_add_f32_dpp v6, v6, v6 quad_perm:[2,3,0,1] row_mask:0xf bank_mask:0xf bound_ctrl:1
	v_cndmask_b32_e64 v6, v35, v6, s0
	v_sub_f32_dpp v35, v3, v3 quad_perm:[2,3,0,1] row_mask:0xf bank_mask:0xf bound_ctrl:1
	v_add_f32_dpp v3, v3, v3 quad_perm:[2,3,0,1] row_mask:0xf bank_mask:0xf bound_ctrl:1
	s_delay_alu instid0(VALU_DEP_1) | instskip(SKIP_2) | instid1(VALU_DEP_1)
	v_cndmask_b32_e64 v3, v35, v3, s0
	v_sub_f32_dpp v35, v2, v2 quad_perm:[2,3,0,1] row_mask:0xf bank_mask:0xf bound_ctrl:1
	v_add_f32_dpp v2, v2, v2 quad_perm:[2,3,0,1] row_mask:0xf bank_mask:0xf bound_ctrl:1
	v_cndmask_b32_e64 v2, v35, v2, s0
	v_sub_f32_e32 v35, v37, v33
	v_add_f32_e32 v33, v33, v37
	v_sub_f32_dpp v36, v30, v30 quad_perm:[2,3,0,1] row_mask:0xf bank_mask:0xf bound_ctrl:1
	v_add_f32_dpp v30, v30, v30 quad_perm:[2,3,0,1] row_mask:0xf bank_mask:0xf bound_ctrl:1
	v_sub_f32_e32 v37, v34, v19
	v_add_f32_e32 v19, v19, v34
	v_mov_b32_dpp v34, v25 row_shl:4 row_mask:0xf bank_mask:0x5 bound_ctrl:1
	s_delay_alu instid0(VALU_DEP_4) | instskip(SKIP_2) | instid1(VALU_DEP_4)
	v_cndmask_b32_e64 v30, v36, v30, s0
	v_sub_f32_dpp v36, v21, v21 quad_perm:[2,3,0,1] row_mask:0xf bank_mask:0xf bound_ctrl:1
	v_add_f32_dpp v21, v21, v21 quad_perm:[2,3,0,1] row_mask:0xf bank_mask:0xf bound_ctrl:1
	v_mov_b32_dpp v34, v25 row_shr:4 row_mask:0xf bank_mask:0xa bound_ctrl:1
	s_delay_alu instid0(VALU_DEP_2) | instskip(SKIP_2) | instid1(VALU_DEP_1)
	v_cndmask_b32_e64 v21, v36, v21, s0
	v_sub_f32_dpp v36, v18, v18 quad_perm:[2,3,0,1] row_mask:0xf bank_mask:0xf bound_ctrl:1
	v_add_f32_dpp v18, v18, v18 quad_perm:[2,3,0,1] row_mask:0xf bank_mask:0xf bound_ctrl:1
	v_cndmask_b32_e64 v18, v36, v18, s0
	v_sub_f32_dpp v36, v13, v13 quad_perm:[2,3,0,1] row_mask:0xf bank_mask:0xf bound_ctrl:1
	v_add_f32_dpp v13, v13, v13 quad_perm:[2,3,0,1] row_mask:0xf bank_mask:0xf bound_ctrl:1
	s_delay_alu instid0(VALU_DEP_1) | instskip(SKIP_2) | instid1(VALU_DEP_1)
	v_cndmask_b32_e64 v13, v36, v13, s0
	v_sub_f32_dpp v36, v12, v12 quad_perm:[2,3,0,1] row_mask:0xf bank_mask:0xf bound_ctrl:1
	v_add_f32_dpp v12, v12, v12 quad_perm:[2,3,0,1] row_mask:0xf bank_mask:0xf bound_ctrl:1
	v_cndmask_b32_e64 v12, v36, v12, s0
	v_sub_f32_dpp v36, v1, v1 quad_perm:[2,3,0,1] row_mask:0xf bank_mask:0xf bound_ctrl:1
	v_add_f32_dpp v1, v1, v1 quad_perm:[2,3,0,1] row_mask:0xf bank_mask:0xf bound_ctrl:1
	s_delay_alu instid0(VALU_DEP_1) | instskip(SKIP_1) | instid1(VALU_DEP_1)
	v_cndmask_b32_e64 v1, v36, v1, s0
	v_and_b32_e32 v36, 4, v0
	v_cmp_eq_u32_e32 vcc_lo, 0, v36
	v_mov_b32_dpp v36, v32 row_shl:4 row_mask:0xf bank_mask:0x5 bound_ctrl:1
	v_cndmask_b32_e32 v33, v35, v33, vcc_lo
	v_cndmask_b32_e32 v27, v38, v27, vcc_lo
	v_mov_b32_dpp v38, v30 row_shl:4 row_mask:0xf bank_mask:0x5 bound_ctrl:1
	s_delay_alu instid0(VALU_DEP_4)
	v_mov_b32_dpp v36, v32 row_shr:4 row_mask:0xf bank_mask:0xa bound_ctrl:1
	v_cndmask_b32_e32 v19, v37, v19, vcc_lo
	v_mov_b32_dpp v37, v28 row_shl:4 row_mask:0xf bank_mask:0x5 bound_ctrl:1
	v_cndmask_b32_e32 v31, v39, v31, vcc_lo
	v_mov_b32_dpp v38, v30 row_shr:4 row_mask:0xf bank_mask:0xa bound_ctrl:1
	v_sub_f32_e32 v35, v36, v32
	v_add_f32_e32 v32, v32, v36
	v_mov_b32_dpp v37, v28 row_shr:4 row_mask:0xf bank_mask:0xa bound_ctrl:1
	v_mov_b32_dpp v39, v26 row_shl:4 row_mask:0xf bank_mask:0x5 bound_ctrl:1
	v_sub_f32_e32 v36, v38, v30
	v_add_f32_e32 v30, v30, v38
	v_dual_sub_f32 v38, v34, v25 :: v_dual_add_f32 v25, v25, v34
	v_cndmask_b32_e32 v32, v35, v32, vcc_lo
	v_sub_f32_e32 v34, v37, v28
	v_mov_b32_dpp v35, v14 row_shl:4 row_mask:0xf bank_mask:0x5 bound_ctrl:1
	v_mov_b32_dpp v39, v26 row_shr:4 row_mask:0xf bank_mask:0xa bound_ctrl:1
	v_cndmask_b32_e32 v25, v38, v25, vcc_lo
	v_mov_b32_dpp v38, v24 row_shl:4 row_mask:0xf bank_mask:0x5 bound_ctrl:1
	s_delay_alu instid0(VALU_DEP_4) | instskip(NEXT) | instid1(VALU_DEP_2)
	v_mov_b32_dpp v35, v14 row_shr:4 row_mask:0xf bank_mask:0xa bound_ctrl:1
	v_mov_b32_dpp v38, v24 row_shr:4 row_mask:0xf bank_mask:0xa bound_ctrl:1
	v_add_f32_e32 v28, v28, v37
	v_mov_b32_dpp v37, v21 row_shl:4 row_mask:0xf bank_mask:0x5 bound_ctrl:1
	s_delay_alu instid0(VALU_DEP_2) | instskip(NEXT) | instid1(VALU_DEP_2)
	v_cndmask_b32_e32 v28, v34, v28, vcc_lo
	v_mov_b32_dpp v37, v21 row_shr:4 row_mask:0xf bank_mask:0xa bound_ctrl:1
	v_sub_f32_e32 v34, v35, v14
	s_delay_alu instid0(VALU_DEP_2) | instskip(SKIP_4) | instid1(VALU_DEP_4)
	v_dual_add_f32 v14, v14, v35 :: v_dual_sub_f32 v35, v37, v21
	v_dual_cndmask_b32 v30, v36, v30 :: v_dual_add_f32 v21, v21, v37
	v_dual_sub_f32 v37, v38, v24 :: v_dual_add_f32 v24, v24, v38
	v_mov_b32_dpp v38, v10 row_shl:4 row_mask:0xf bank_mask:0x5 bound_ctrl:1
	v_sub_f32_e32 v36, v39, v26
	v_cndmask_b32_e32 v21, v35, v21, vcc_lo
	v_mov_b32_dpp v35, v20 row_shl:4 row_mask:0xf bank_mask:0x5 bound_ctrl:1
	v_cndmask_b32_e32 v14, v34, v14, vcc_lo
	v_mov_b32_dpp v38, v10 row_shr:4 row_mask:0xf bank_mask:0xa bound_ctrl:1
	v_cndmask_b32_e32 v24, v37, v24, vcc_lo
	v_mov_b32_dpp v37, v18 row_shl:4 row_mask:0xf bank_mask:0x5 bound_ctrl:1
	v_mov_b32_dpp v35, v20 row_shr:4 row_mask:0xf bank_mask:0xa bound_ctrl:1
	s_delay_alu instid0(VALU_DEP_2) | instskip(SKIP_2) | instid1(VALU_DEP_2)
	v_mov_b32_dpp v37, v18 row_shr:4 row_mask:0xf bank_mask:0xa bound_ctrl:1
	v_add_f32_e32 v26, v26, v39
	v_mov_b32_dpp v39, v16 row_shl:4 row_mask:0xf bank_mask:0x5 bound_ctrl:1
	v_cndmask_b32_e32 v26, v36, v26, vcc_lo
	v_mov_b32_dpp v36, v22 row_shl:4 row_mask:0xf bank_mask:0x5 bound_ctrl:1
	s_delay_alu instid0(VALU_DEP_3) | instskip(NEXT) | instid1(VALU_DEP_2)
	v_mov_b32_dpp v39, v16 row_shr:4 row_mask:0xf bank_mask:0xa bound_ctrl:1
	v_mov_b32_dpp v36, v22 row_shr:4 row_mask:0xf bank_mask:0xa bound_ctrl:1
	s_delay_alu instid0(VALU_DEP_1) | instskip(SKIP_1) | instid1(VALU_DEP_4)
	v_sub_f32_e32 v34, v36, v22
	v_add_f32_e32 v22, v22, v36
	v_sub_f32_e32 v36, v39, v16
	v_add_f32_e32 v16, v16, v39
	v_mov_b32_dpp v39, v29 row_shl:4 row_mask:0xf bank_mask:0x5 bound_ctrl:1
	s_delay_alu instid0(VALU_DEP_4) | instskip(SKIP_1) | instid1(VALU_DEP_4)
	v_cndmask_b32_e32 v22, v34, v22, vcc_lo
	v_sub_f32_e32 v34, v35, v20
	v_cndmask_b32_e32 v16, v36, v16, vcc_lo
	v_dual_add_f32 v20, v20, v35 :: v_dual_sub_f32 v35, v37, v18
	v_mov_b32_dpp v36, v23 row_shl:4 row_mask:0xf bank_mask:0x5 bound_ctrl:1
	v_add_f32_e32 v18, v18, v37
	v_sub_f32_e32 v37, v38, v10
	v_add_f32_e32 v10, v10, v38
	v_mov_b32_dpp v39, v29 row_shr:4 row_mask:0xf bank_mask:0xa bound_ctrl:1
	v_mov_b32_dpp v36, v23 row_shr:4 row_mask:0xf bank_mask:0xa bound_ctrl:1
	v_cndmask_b32_e32 v18, v35, v18, vcc_lo
	v_mov_b32_dpp v35, v15 row_shl:4 row_mask:0xf bank_mask:0x5 bound_ctrl:1
	v_cndmask_b32_e32 v10, v37, v10, vcc_lo
	v_mov_b32_dpp v37, v13 row_shl:4 row_mask:0xf bank_mask:0x5 bound_ctrl:1
	v_mov_b32_dpp v38, v8 row_shl:4 row_mask:0xf bank_mask:0x5 bound_ctrl:1
	v_cndmask_b32_e32 v20, v34, v20, vcc_lo
	v_dual_sub_f32 v34, v36, v23 :: v_dual_add_f32 v23, v23, v36
	v_dual_sub_f32 v36, v39, v29 :: v_dual_add_f32 v29, v29, v39
	v_mov_b32_dpp v35, v15 row_shr:4 row_mask:0xf bank_mask:0xa bound_ctrl:1
	v_mov_b32_dpp v37, v13 row_shr:4 row_mask:0xf bank_mask:0xa bound_ctrl:1
	;; [unrolled: 1-line block ×3, first 2 shown]
	v_cndmask_b32_e32 v23, v34, v23, vcc_lo
	s_delay_alu instid0(VALU_DEP_4)
	v_dual_cndmask_b32 v29, v36, v29 :: v_dual_sub_f32 v34, v35, v15
	v_add_f32_e32 v15, v15, v35
	v_sub_f32_e32 v35, v37, v13
	v_mov_b32_dpp v36, v11 row_shl:4 row_mask:0xf bank_mask:0x5 bound_ctrl:1
	v_add_f32_e32 v13, v13, v37
	v_sub_f32_e32 v37, v38, v8
	v_mov_b32_dpp v39, v9 row_shl:4 row_mask:0xf bank_mask:0x5 bound_ctrl:1
	v_add_f32_e32 v8, v8, v38
	v_mov_b32_dpp v36, v11 row_shr:4 row_mask:0xf bank_mask:0xa bound_ctrl:1
	v_cndmask_b32_e32 v13, v35, v13, vcc_lo
	v_mov_b32_dpp v35, v6 row_shl:4 row_mask:0xf bank_mask:0x5 bound_ctrl:1
	v_mov_b32_dpp v39, v9 row_shr:4 row_mask:0xf bank_mask:0xa bound_ctrl:1
	v_cndmask_b32_e32 v8, v37, v8, vcc_lo
	v_mov_b32_dpp v37, v12 row_shl:4 row_mask:0xf bank_mask:0x5 bound_ctrl:1
	v_mov_b32_dpp v38, v7 row_shl:4 row_mask:0xf bank_mask:0x5 bound_ctrl:1
	v_cndmask_b32_e32 v15, v34, v15, vcc_lo
	v_dual_sub_f32 v34, v36, v11 :: v_dual_add_f32 v11, v11, v36
	v_dual_sub_f32 v36, v39, v9 :: v_dual_add_f32 v9, v9, v39
	v_mov_b32_dpp v35, v6 row_shr:4 row_mask:0xf bank_mask:0xa bound_ctrl:1
	v_mov_b32_dpp v37, v12 row_shr:4 row_mask:0xf bank_mask:0xa bound_ctrl:1
	;; [unrolled: 1-line block ×3, first 2 shown]
	v_cndmask_b32_e32 v11, v34, v11, vcc_lo
	s_delay_alu instid0(VALU_DEP_4) | instskip(NEXT) | instid1(VALU_DEP_4)
	v_dual_cndmask_b32 v9, v36, v9 :: v_dual_sub_f32 v34, v35, v6
	v_dual_add_f32 v6, v6, v35 :: v_dual_sub_f32 v35, v37, v12
	v_mov_b32_dpp v36, v5 row_shl:4 row_mask:0xf bank_mask:0x5 bound_ctrl:1
	v_dual_add_f32 v12, v12, v37 :: v_dual_sub_f32 v37, v38, v7
	v_add_f32_e32 v7, v7, v38
	s_delay_alu instid0(VALU_DEP_4) | instskip(NEXT) | instid1(VALU_DEP_4)
	v_cndmask_b32_e32 v6, v34, v6, vcc_lo
	v_mov_b32_dpp v36, v5 row_shr:4 row_mask:0xf bank_mask:0xa bound_ctrl:1
	s_delay_alu instid0(VALU_DEP_4) | instskip(SKIP_4) | instid1(VALU_DEP_4)
	v_cndmask_b32_e32 v12, v35, v12, vcc_lo
	v_mov_b32_dpp v35, v3 row_shl:4 row_mask:0xf bank_mask:0x5 bound_ctrl:1
	v_cndmask_b32_e32 v7, v37, v7, vcc_lo
	v_mov_b32_dpp v37, v1 row_shl:4 row_mask:0xf bank_mask:0x5 bound_ctrl:1
	v_dual_sub_f32 v34, v36, v5 :: v_dual_add_f32 v5, v5, v36
	v_mov_b32_dpp v35, v3 row_shr:4 row_mask:0xf bank_mask:0xa bound_ctrl:1
	v_mov_b32_dpp v39, v4 row_shl:4 row_mask:0xf bank_mask:0x5 bound_ctrl:1
	s_delay_alu instid0(VALU_DEP_4) | instskip(SKIP_1) | instid1(VALU_DEP_4)
	v_mov_b32_dpp v37, v1 row_shr:4 row_mask:0xf bank_mask:0xa bound_ctrl:1
	v_mov_b32_dpp v38, v2 row_shl:4 row_mask:0xf bank_mask:0x5 bound_ctrl:1
	v_dual_cndmask_b32 v5, v34, v5 :: v_dual_sub_f32 v34, v35, v3
	v_add_f32_e32 v3, v3, v35
	s_delay_alu instid0(VALU_DEP_4)
	v_sub_f32_e32 v35, v37, v1
	v_add_f32_e32 v1, v1, v37
	v_and_b32_e32 v37, 8, v0
	v_mov_b32_dpp v39, v4 row_shr:4 row_mask:0xf bank_mask:0xa bound_ctrl:1
	v_cndmask_b32_e32 v3, v34, v3, vcc_lo
	v_sub_f32_dpp v34, v31, v31 row_ror:8 row_mask:0xf bank_mask:0xf bound_ctrl:1
	v_add_f32_dpp v31, v31, v31 row_ror:8 row_mask:0xf bank_mask:0xf bound_ctrl:1
	v_cmp_eq_u32_e64 s0, 0, v37
	v_cndmask_b32_e32 v1, v35, v1, vcc_lo
	v_sub_f32_dpp v35, v33, v33 row_ror:8 row_mask:0xf bank_mask:0xf bound_ctrl:1
	v_add_f32_dpp v33, v33, v33 row_ror:8 row_mask:0xf bank_mask:0xf bound_ctrl:1
	v_mov_b32_dpp v38, v2 row_shr:4 row_mask:0xf bank_mask:0xa bound_ctrl:1
	v_cndmask_b32_e64 v31, v34, v31, s0
	v_sub_f32_dpp v34, v25, v25 row_ror:8 row_mask:0xf bank_mask:0xf bound_ctrl:1
	v_add_f32_dpp v25, v25, v25 row_ror:8 row_mask:0xf bank_mask:0xf bound_ctrl:1
	v_cndmask_b32_e64 v33, v35, v33, s0
	v_sub_f32_dpp v35, v28, v28 row_ror:8 row_mask:0xf bank_mask:0xf bound_ctrl:1
	v_add_f32_dpp v28, v28, v28 row_ror:8 row_mask:0xf bank_mask:0xf bound_ctrl:1
	v_sub_f32_dpp v37, v32, v32 row_ror:8 row_mask:0xf bank_mask:0xf bound_ctrl:1
	v_cndmask_b32_e64 v25, v34, v25, s0
	v_sub_f32_e32 v36, v39, v4
	v_add_f32_e32 v4, v4, v39
	v_add_f32_dpp v32, v32, v32 row_ror:8 row_mask:0xf bank_mask:0xf bound_ctrl:1
	v_cndmask_b32_e64 v28, v35, v28, s0
	v_sub_f32_dpp v35, v22, v22 row_ror:8 row_mask:0xf bank_mask:0xf bound_ctrl:1
	v_add_f32_dpp v22, v22, v22 row_ror:8 row_mask:0xf bank_mask:0xf bound_ctrl:1
	v_cndmask_b32_e32 v4, v36, v4, vcc_lo
	v_sub_f32_e32 v36, v38, v2
	v_add_f32_e32 v2, v2, v38
	v_sub_f32_dpp v38, v27, v27 row_ror:8 row_mask:0xf bank_mask:0xf bound_ctrl:1
	v_add_f32_dpp v27, v27, v27 row_ror:8 row_mask:0xf bank_mask:0xf bound_ctrl:1
	v_cndmask_b32_e64 v32, v37, v32, s0
	v_cndmask_b32_e64 v22, v35, v22, s0
	v_cndmask_b32_e32 v2, v36, v2, vcc_lo
	v_sub_f32_dpp v36, v19, v19 row_ror:8 row_mask:0xf bank_mask:0xf bound_ctrl:1
	v_add_f32_dpp v19, v19, v19 row_ror:8 row_mask:0xf bank_mask:0xf bound_ctrl:1
	v_cndmask_b32_e64 v27, v38, v27, s0
	v_sub_f32_dpp v38, v30, v30 row_ror:8 row_mask:0xf bank_mask:0xf bound_ctrl:1
	v_add_f32_dpp v30, v30, v30 row_ror:8 row_mask:0xf bank_mask:0xf bound_ctrl:1
	v_sub_f32_dpp v35, v23, v23 row_ror:8 row_mask:0xf bank_mask:0xf bound_ctrl:1
	v_cndmask_b32_e64 v19, v36, v19, s0
	v_sub_f32_dpp v36, v26, v26 row_ror:8 row_mask:0xf bank_mask:0xf bound_ctrl:1
	v_add_f32_dpp v26, v26, v26 row_ror:8 row_mask:0xf bank_mask:0xf bound_ctrl:1
	v_cndmask_b32_e64 v30, v38, v30, s0
	v_sub_f32_dpp v38, v21, v21 row_ror:8 row_mask:0xf bank_mask:0xf bound_ctrl:1
	v_add_f32_dpp v21, v21, v21 row_ror:8 row_mask:0xf bank_mask:0xf bound_ctrl:1
	v_add_f32_dpp v23, v23, v23 row_ror:8 row_mask:0xf bank_mask:0xf bound_ctrl:1
	v_cndmask_b32_e64 v26, v36, v26, s0
	v_sub_f32_dpp v36, v16, v16 row_ror:8 row_mask:0xf bank_mask:0xf bound_ctrl:1
	v_add_f32_dpp v16, v16, v16 row_ror:8 row_mask:0xf bank_mask:0xf bound_ctrl:1
	v_cndmask_b32_e64 v21, v38, v21, s0
	v_sub_f32_dpp v38, v18, v18 row_ror:8 row_mask:0xf bank_mask:0xf bound_ctrl:1
	v_add_f32_dpp v18, v18, v18 row_ror:8 row_mask:0xf bank_mask:0xf bound_ctrl:1
	v_cndmask_b32_e64 v23, v35, v23, s0
	v_cndmask_b32_e64 v16, v36, v16, s0
	v_sub_f32_dpp v36, v29, v29 row_ror:8 row_mask:0xf bank_mask:0xf bound_ctrl:1
	v_add_f32_dpp v29, v29, v29 row_ror:8 row_mask:0xf bank_mask:0xf bound_ctrl:1
	v_cndmask_b32_e64 v18, v38, v18, s0
	v_sub_f32_dpp v38, v13, v13 row_ror:8 row_mask:0xf bank_mask:0xf bound_ctrl:1
	v_add_f32_dpp v13, v13, v13 row_ror:8 row_mask:0xf bank_mask:0xf bound_ctrl:1
	v_sub_f32_dpp v35, v11, v11 row_ror:8 row_mask:0xf bank_mask:0xf bound_ctrl:1
	v_cndmask_b32_e64 v29, v36, v29, s0
	v_add_f32_dpp v11, v11, v11 row_ror:8 row_mask:0xf bank_mask:0xf bound_ctrl:1
	v_sub_f32_dpp v36, v9, v9 row_ror:8 row_mask:0xf bank_mask:0xf bound_ctrl:1
	v_add_f32_dpp v9, v9, v9 row_ror:8 row_mask:0xf bank_mask:0xf bound_ctrl:1
	v_sub_f32_dpp v37, v14, v14 row_ror:8 row_mask:0xf bank_mask:0xf bound_ctrl:1
	v_add_f32_dpp v14, v14, v14 row_ror:8 row_mask:0xf bank_mask:0xf bound_ctrl:1
	v_cndmask_b32_e64 v13, v38, v13, s0
	v_sub_f32_dpp v38, v12, v12 row_ror:8 row_mask:0xf bank_mask:0xf bound_ctrl:1
	v_add_f32_dpp v12, v12, v12 row_ror:8 row_mask:0xf bank_mask:0xf bound_ctrl:1
	v_cndmask_b32_e64 v11, v35, v11, s0
	v_cndmask_b32_e64 v9, v36, v9, s0
	v_sub_f32_dpp v35, v5, v5 row_ror:8 row_mask:0xf bank_mask:0xf bound_ctrl:1
	v_add_f32_dpp v5, v5, v5 row_ror:8 row_mask:0xf bank_mask:0xf bound_ctrl:1
	v_sub_f32_dpp v36, v4, v4 row_ror:8 row_mask:0xf bank_mask:0xf bound_ctrl:1
	v_add_f32_dpp v4, v4, v4 row_ror:8 row_mask:0xf bank_mask:0xf bound_ctrl:1
	v_cndmask_b32_e64 v14, v37, v14, s0
	v_sub_f32_dpp v34, v24, v24 row_ror:8 row_mask:0xf bank_mask:0xf bound_ctrl:1
	v_add_f32_dpp v24, v24, v24 row_ror:8 row_mask:0xf bank_mask:0xf bound_ctrl:1
	v_sub_f32_dpp v37, v20, v20 row_ror:8 row_mask:0xf bank_mask:0xf bound_ctrl:1
	v_add_f32_dpp v20, v20, v20 row_ror:8 row_mask:0xf bank_mask:0xf bound_ctrl:1
	v_cndmask_b32_e64 v12, v38, v12, s0
	v_sub_f32_dpp v38, v1, v1 row_ror:8 row_mask:0xf bank_mask:0xf bound_ctrl:1
	v_add_f32_dpp v1, v1, v1 row_ror:8 row_mask:0xf bank_mask:0xf bound_ctrl:1
	v_cndmask_b32_e64 v5, v35, v5, s0
	v_cndmask_b32_e64 v4, v36, v4, s0
	v_permlanex16_b32 v35, v27, s1, 0xfedcba98 op_sel:[1,1]
	v_permlanex16_b32 v36, v31, s1, 0xfedcba98 op_sel:[1,1]
	v_and_b32_e32 v0, 16, v0
	v_cndmask_b32_e64 v24, v34, v24, s0
	v_cndmask_b32_e64 v20, v37, v20, s0
	v_sub_f32_dpp v37, v15, v15 row_ror:8 row_mask:0xf bank_mask:0xf bound_ctrl:1
	v_add_f32_dpp v15, v15, v15 row_ror:8 row_mask:0xf bank_mask:0xf bound_ctrl:1
	v_cndmask_b32_e64 v1, v38, v1, s0
	v_sub_f32_e32 v38, v35, v27
	v_add_f32_e32 v27, v27, v35
	v_sub_f32_e32 v35, v36, v31
	v_add_f32_e32 v31, v31, v36
	v_cmp_eq_u32_e32 vcc_lo, 0, v0
	v_sub_f32_dpp v34, v10, v10 row_ror:8 row_mask:0xf bank_mask:0xf bound_ctrl:1
	v_add_f32_dpp v10, v10, v10 row_ror:8 row_mask:0xf bank_mask:0xf bound_ctrl:1
	v_cndmask_b32_e64 v15, v37, v15, s0
	v_cndmask_b32_e32 v31, v35, v31, vcc_lo
	v_sub_f32_dpp v37, v6, v6 row_ror:8 row_mask:0xf bank_mask:0xf bound_ctrl:1
	v_add_f32_dpp v6, v6, v6 row_ror:8 row_mask:0xf bank_mask:0xf bound_ctrl:1
	v_cndmask_b32_e64 v10, v34, v10, s0
	v_sub_f32_dpp v34, v8, v8 row_ror:8 row_mask:0xf bank_mask:0xf bound_ctrl:1
	v_add_f32_dpp v8, v8, v8 row_ror:8 row_mask:0xf bank_mask:0xf bound_ctrl:1
	s_delay_alu instid0(VALU_DEP_4) | instskip(SKIP_2) | instid1(VALU_DEP_4)
	v_cndmask_b32_e64 v6, v37, v6, s0
	v_sub_f32_dpp v37, v3, v3 row_ror:8 row_mask:0xf bank_mask:0xf bound_ctrl:1
	v_add_f32_dpp v3, v3, v3 row_ror:8 row_mask:0xf bank_mask:0xf bound_ctrl:1
	v_cndmask_b32_e64 v8, v34, v8, s0
	v_sub_f32_dpp v34, v7, v7 row_ror:8 row_mask:0xf bank_mask:0xf bound_ctrl:1
	v_add_f32_dpp v7, v7, v7 row_ror:8 row_mask:0xf bank_mask:0xf bound_ctrl:1
	s_delay_alu instid0(VALU_DEP_4) | instskip(SKIP_1) | instid1(VALU_DEP_3)
	v_cndmask_b32_e64 v3, v37, v3, s0
	v_permlanex16_b32 v37, v33, s1, 0xfedcba98 op_sel:[1,1]
	v_cndmask_b32_e64 v7, v34, v7, s0
	v_sub_f32_dpp v34, v2, v2 row_ror:8 row_mask:0xf bank_mask:0xf bound_ctrl:1
	v_add_f32_dpp v2, v2, v2 row_ror:8 row_mask:0xf bank_mask:0xf bound_ctrl:1
	s_delay_alu instid0(VALU_DEP_4) | instskip(SKIP_2) | instid1(VALU_DEP_4)
	v_sub_f32_e32 v36, v37, v33
	v_add_f32_e32 v0, v33, v37
	v_permlanex16_b32 v33, v19, s1, 0xfedcba98 op_sel:[1,1]
	v_cndmask_b32_e64 v2, v34, v2, s0
	v_permlanex16_b32 v34, v32, s1, 0xfedcba98 op_sel:[1,1]
	s_delay_alu instid0(VALU_DEP_3) | instskip(SKIP_4) | instid1(VALU_DEP_4)
	v_dual_cndmask_b32 v0, v36, v0 :: v_dual_sub_f32 v35, v33, v19
	v_permlanex16_b32 v36, v30, s1, 0xfedcba98 op_sel:[1,1]
	v_add_f32_e32 v19, v19, v33
	v_permlanex16_b32 v33, v25, s1, 0xfedcba98 op_sel:[1,1]
	v_dual_sub_f32 v37, v34, v32 :: v_dual_add_f32 v32, v32, v34
	v_sub_f32_e32 v34, v36, v30
	v_add_f32_e32 v30, v30, v36
	s_delay_alu instid0(VALU_DEP_4) | instskip(SKIP_2) | instid1(VALU_DEP_4)
	v_sub_f32_e32 v36, v33, v25
	v_add_f32_e32 v25, v25, v33
	v_permlanex16_b32 v33, v28, s1, 0xfedcba98 op_sel:[1,1]
	v_dual_cndmask_b32 v19, v35, v19 :: v_dual_cndmask_b32 v30, v34, v30
	v_permlanex16_b32 v34, v26, s1, 0xfedcba98 op_sel:[1,1]
	s_delay_alu instid0(VALU_DEP_4) | instskip(NEXT) | instid1(VALU_DEP_4)
	v_cndmask_b32_e32 v25, v36, v25, vcc_lo
	v_sub_f32_e32 v35, v33, v28
	v_permlanex16_b32 v36, v14, s1, 0xfedcba98 op_sel:[1,1]
	v_add_f32_e32 v28, v28, v33
	v_permlanex16_b32 v33, v21, s1, 0xfedcba98 op_sel:[1,1]
	v_dual_cndmask_b32 v32, v37, v32 :: v_dual_sub_f32 v37, v34, v26
	v_add_f32_e32 v26, v26, v34
	v_sub_f32_e32 v34, v36, v14
	v_add_f32_e32 v14, v14, v36
	v_sub_f32_e32 v36, v33, v21
	v_add_f32_e32 v21, v21, v33
	v_permlanex16_b32 v33, v24, s1, 0xfedcba98 op_sel:[1,1]
	v_cndmask_b32_e32 v28, v35, v28, vcc_lo
	v_cndmask_b32_e32 v14, v34, v14, vcc_lo
	v_permlanex16_b32 v34, v22, s1, 0xfedcba98 op_sel:[1,1]
	v_cndmask_b32_e32 v21, v36, v21, vcc_lo
	v_sub_f32_e32 v35, v33, v24
	v_permlanex16_b32 v36, v16, s1, 0xfedcba98 op_sel:[1,1]
	v_add_f32_e32 v24, v24, v33
	v_permlanex16_b32 v33, v20, s1, 0xfedcba98 op_sel:[1,1]
	v_cndmask_b32_e32 v26, v37, v26, vcc_lo
	v_sub_f32_e32 v37, v34, v22
	v_add_f32_e32 v22, v22, v34
	v_sub_f32_e32 v34, v36, v16
	v_add_f32_e32 v16, v16, v36
	;; [unrolled: 2-line block ×3, first 2 shown]
	v_permlanex16_b32 v33, v18, s1, 0xfedcba98 op_sel:[1,1]
	v_cndmask_b32_e32 v24, v35, v24, vcc_lo
	v_cndmask_b32_e32 v16, v34, v16, vcc_lo
	v_permlanex16_b32 v34, v10, s1, 0xfedcba98 op_sel:[1,1]
	s_delay_alu instid0(VALU_DEP_4)
	v_dual_cndmask_b32 v20, v36, v20 :: v_dual_sub_f32 v35, v33, v18
	v_permlanex16_b32 v36, v23, s1, 0xfedcba98 op_sel:[1,1]
	v_add_f32_e32 v18, v18, v33
	v_permlanex16_b32 v33, v29, s1, 0xfedcba98 op_sel:[1,1]
	v_cndmask_b32_e32 v22, v37, v22, vcc_lo
	v_sub_f32_e32 v37, v34, v10
	v_add_f32_e32 v10, v10, v34
	v_dual_sub_f32 v34, v36, v23 :: v_dual_add_f32 v23, v23, v36
	v_sub_f32_e32 v36, v33, v29
	v_add_f32_e32 v29, v29, v33
	v_permlanex16_b32 v33, v15, s1, 0xfedcba98 op_sel:[1,1]
	s_delay_alu instid0(VALU_DEP_4) | instskip(SKIP_1) | instid1(VALU_DEP_4)
	v_dual_cndmask_b32 v18, v35, v18 :: v_dual_cndmask_b32 v23, v34, v23
	v_permlanex16_b32 v34, v13, s1, 0xfedcba98 op_sel:[1,1]
	v_cndmask_b32_e32 v29, v36, v29, vcc_lo
	s_delay_alu instid0(VALU_DEP_4) | instskip(SKIP_4) | instid1(VALU_DEP_4)
	v_sub_f32_e32 v35, v33, v15
	v_permlanex16_b32 v36, v8, s1, 0xfedcba98 op_sel:[1,1]
	v_add_f32_e32 v15, v15, v33
	v_permlanex16_b32 v33, v11, s1, 0xfedcba98 op_sel:[1,1]
	v_dual_cndmask_b32 v10, v37, v10 :: v_dual_sub_f32 v37, v34, v13
	v_dual_add_f32 v13, v13, v34 :: v_dual_sub_f32 v34, v36, v8
	v_add_f32_e32 v8, v8, v36
	s_delay_alu instid0(VALU_DEP_4) | instskip(SKIP_1) | instid1(VALU_DEP_3)
	v_dual_sub_f32 v36, v33, v11 :: v_dual_add_f32 v11, v11, v33
	v_permlanex16_b32 v33, v9, s1, 0xfedcba98 op_sel:[1,1]
	v_dual_cndmask_b32 v15, v35, v15 :: v_dual_cndmask_b32 v8, v34, v8
	v_permlanex16_b32 v34, v6, s1, 0xfedcba98 op_sel:[1,1]
	s_delay_alu instid0(VALU_DEP_4) | instskip(NEXT) | instid1(VALU_DEP_4)
	v_cndmask_b32_e32 v11, v36, v11, vcc_lo
	v_sub_f32_e32 v35, v33, v9
	v_permlanex16_b32 v36, v12, s1, 0xfedcba98 op_sel:[1,1]
	v_add_f32_e32 v9, v9, v33
	v_permlanex16_b32 v33, v7, s1, 0xfedcba98 op_sel:[1,1]
	v_cndmask_b32_e32 v13, v37, v13, vcc_lo
	v_sub_f32_e32 v37, v34, v6
	v_add_f32_e32 v6, v6, v34
	v_sub_f32_e32 v34, v36, v12
	v_add_f32_e32 v12, v12, v36
	v_dual_sub_f32 v36, v33, v7 :: v_dual_add_f32 v7, v7, v33
	v_permlanex16_b32 v33, v5, s1, 0xfedcba98 op_sel:[1,1]
	v_cndmask_b32_e32 v9, v35, v9, vcc_lo
	s_delay_alu instid0(VALU_DEP_4) | instskip(NEXT) | instid1(VALU_DEP_4)
	v_dual_cndmask_b32 v35, v37, v6 :: v_dual_cndmask_b32 v12, v34, v12
	v_cndmask_b32_e32 v34, v36, v7, vcc_lo
	v_permlanex16_b32 v6, v4, s1, 0xfedcba98 op_sel:[1,1]
	v_sub_f32_e32 v7, v33, v5
	v_permlanex16_b32 v36, v3, s1, 0xfedcba98 op_sel:[1,1]
	v_add_f32_e32 v5, v5, v33
	v_permlanex16_b32 v33, v1, s1, 0xfedcba98 op_sel:[1,1]
	v_cndmask_b32_e32 v27, v38, v27, vcc_lo
	v_dual_sub_f32 v37, v6, v4 :: v_dual_add_f32 v4, v4, v6
	v_dual_sub_f32 v6, v36, v3 :: v_dual_add_f32 v3, v3, v36
	s_delay_alu instid0(VALU_DEP_4) | instskip(SKIP_3) | instid1(VALU_DEP_3)
	v_sub_f32_e32 v36, v33, v1
	v_add_f32_e32 v1, v1, v33
	v_permlanex16_b32 v33, v2, s1, 0xfedcba98 op_sel:[1,1]
	v_dual_cndmask_b32 v38, v7, v5 :: v_dual_cndmask_b32 v37, v37, v4
	v_dual_cndmask_b32 v39, v6, v3 :: v_dual_cndmask_b32 v36, v36, v1
	s_delay_alu instid0(VALU_DEP_3)
	v_dual_add_f32 v5, v2, v33 :: v_dual_sub_f32 v4, v33, v2
	v_fma_mixlo_f16 v3, v25, s6, 0
	v_fma_mixlo_f16 v2, v32, s6, 0
	;; [unrolled: 1-line block ×4, first 2 shown]
	s_add_u32 s0, s4, s2
	v_fma_mixhi_f16 v3, v28, s6, 0
	v_fma_mixhi_f16 v2, v30, s6, 0
	;; [unrolled: 1-line block ×4, first 2 shown]
	v_fma_mixlo_f16 v7, v11, s6, 0
	v_fma_mixlo_f16 v6, v13, s6, 0
	s_addc_u32 s1, s5, s3
	s_lshl_b32 s2, s12, 11
	s_and_b32 s1, s1, 0xffff
	s_mov_b32 s3, -1
	v_cndmask_b32_e32 v19, v4, v5, vcc_lo
	buffer_store_b128 v[0:3], v17, s[0:3], 0 offen
	v_fma_mixlo_f16 v3, v20, s6, 0
	v_fma_mixlo_f16 v2, v22, s6, 0
	;; [unrolled: 1-line block ×6, first 2 shown]
	v_fma_mixhi_f16 v7, v9, s6, 0
	v_fma_mixhi_f16 v6, v8, s6, 0
	v_fma_mixlo_f16 v11, v36, s6, 0
	v_fma_mixlo_f16 v10, v37, s6, 0
	;; [unrolled: 1-line block ×4, first 2 shown]
	v_fma_mixhi_f16 v3, v18, s6, 0
	v_fma_mixhi_f16 v2, v16, s6, 0
	;; [unrolled: 1-line block ×10, first 2 shown]
	;;#ASMSTART
	s_nop 0
	;;#ASMEND
	buffer_store_b128 v[0:3], v17, s[0:3], 16 offen
	;;#ASMSTART
	s_nop 0
	;;#ASMEND
	buffer_store_b128 v[4:7], v17, s[0:3], 32 offen
	;; [unrolled: 4-line block ×3, first 2 shown]
	;;#ASMSTART
	s_nop 0
	;;#ASMEND
	s_nop 0
	s_sendmsg sendmsg(MSG_DEALLOC_VGPRS)
	s_endpgm
	.section	.rodata,"a",@progbits
	.p2align	6, 0x0
	.amdhsa_kernel _ZN5aiter55rope_hadamard_rotate_activation_fp4quant_inplace_kernelIDF16_Li1024ELb0ELi32EEEvPT_PKS1_S4_S4_PKliiiii
		.amdhsa_group_segment_fixed_size 0
		.amdhsa_private_segment_fixed_size 0
		.amdhsa_kernarg_size 60
		.amdhsa_user_sgpr_count 15
		.amdhsa_user_sgpr_dispatch_ptr 0
		.amdhsa_user_sgpr_queue_ptr 0
		.amdhsa_user_sgpr_kernarg_segment_ptr 1
		.amdhsa_user_sgpr_dispatch_id 0
		.amdhsa_user_sgpr_private_segment_size 0
		.amdhsa_wavefront_size32 1
		.amdhsa_uses_dynamic_stack 0
		.amdhsa_enable_private_segment 0
		.amdhsa_system_sgpr_workgroup_id_x 1
		.amdhsa_system_sgpr_workgroup_id_y 0
		.amdhsa_system_sgpr_workgroup_id_z 0
		.amdhsa_system_sgpr_workgroup_info 0
		.amdhsa_system_vgpr_workitem_id 0
		.amdhsa_next_free_vgpr 83
		.amdhsa_next_free_sgpr 20
		.amdhsa_reserve_vcc 1
		.amdhsa_float_round_mode_32 0
		.amdhsa_float_round_mode_16_64 0
		.amdhsa_float_denorm_mode_32 3
		.amdhsa_float_denorm_mode_16_64 3
		.amdhsa_dx10_clamp 1
		.amdhsa_ieee_mode 1
		.amdhsa_fp16_overflow 0
		.amdhsa_workgroup_processor_mode 1
		.amdhsa_memory_ordered 1
		.amdhsa_forward_progress 0
		.amdhsa_shared_vgpr_count 0
		.amdhsa_exception_fp_ieee_invalid_op 0
		.amdhsa_exception_fp_denorm_src 0
		.amdhsa_exception_fp_ieee_div_zero 0
		.amdhsa_exception_fp_ieee_overflow 0
		.amdhsa_exception_fp_ieee_underflow 0
		.amdhsa_exception_fp_ieee_inexact 0
		.amdhsa_exception_int_div_zero 0
	.end_amdhsa_kernel
	.section	.text._ZN5aiter55rope_hadamard_rotate_activation_fp4quant_inplace_kernelIDF16_Li1024ELb0ELi32EEEvPT_PKS1_S4_S4_PKliiiii,"axG",@progbits,_ZN5aiter55rope_hadamard_rotate_activation_fp4quant_inplace_kernelIDF16_Li1024ELb0ELi32EEEvPT_PKS1_S4_S4_PKliiiii,comdat
.Lfunc_end31:
	.size	_ZN5aiter55rope_hadamard_rotate_activation_fp4quant_inplace_kernelIDF16_Li1024ELb0ELi32EEEvPT_PKS1_S4_S4_PKliiiii, .Lfunc_end31-_ZN5aiter55rope_hadamard_rotate_activation_fp4quant_inplace_kernelIDF16_Li1024ELb0ELi32EEEvPT_PKS1_S4_S4_PKliiiii
                                        ; -- End function
	.section	.AMDGPU.csdata,"",@progbits
; Kernel info:
; codeLenInByte = 6444
; NumSgprs: 22
; NumVgprs: 83
; ScratchSize: 0
; MemoryBound: 0
; FloatMode: 240
; IeeeMode: 1
; LDSByteSize: 0 bytes/workgroup (compile time only)
; SGPRBlocks: 2
; VGPRBlocks: 10
; NumSGPRsForWavesPerEU: 22
; NumVGPRsForWavesPerEU: 83
; Occupancy: 16
; WaveLimiterHint : 1
; COMPUTE_PGM_RSRC2:SCRATCH_EN: 0
; COMPUTE_PGM_RSRC2:USER_SGPR: 15
; COMPUTE_PGM_RSRC2:TRAP_HANDLER: 0
; COMPUTE_PGM_RSRC2:TGID_X_EN: 1
; COMPUTE_PGM_RSRC2:TGID_Y_EN: 0
; COMPUTE_PGM_RSRC2:TGID_Z_EN: 0
; COMPUTE_PGM_RSRC2:TIDIG_COMP_CNT: 0
	.section	.text._ZN5aiter55rope_hadamard_rotate_activation_fp4quant_inplace_kernelItLi1024ELb0ELi32EEEvPT_PKS1_S4_S4_PKliiiii,"axG",@progbits,_ZN5aiter55rope_hadamard_rotate_activation_fp4quant_inplace_kernelItLi1024ELb0ELi32EEEvPT_PKS1_S4_S4_PKliiiii,comdat
	.protected	_ZN5aiter55rope_hadamard_rotate_activation_fp4quant_inplace_kernelItLi1024ELb0ELi32EEEvPT_PKS1_S4_S4_PKliiiii ; -- Begin function _ZN5aiter55rope_hadamard_rotate_activation_fp4quant_inplace_kernelItLi1024ELb0ELi32EEEvPT_PKS1_S4_S4_PKliiiii
	.globl	_ZN5aiter55rope_hadamard_rotate_activation_fp4quant_inplace_kernelItLi1024ELb0ELi32EEEvPT_PKS1_S4_S4_PKliiiii
	.p2align	8
	.type	_ZN5aiter55rope_hadamard_rotate_activation_fp4quant_inplace_kernelItLi1024ELb0ELi32EEEvPT_PKS1_S4_S4_PKliiiii,@function
_ZN5aiter55rope_hadamard_rotate_activation_fp4quant_inplace_kernelItLi1024ELb0ELi32EEEvPT_PKS1_S4_S4_PKliiiii: ; @_ZN5aiter55rope_hadamard_rotate_activation_fp4quant_inplace_kernelItLi1024ELb0ELi32EEEvPT_PKS1_S4_S4_PKliiiii
; %bb.0:
	s_clause 0x1
	s_load_b128 s[8:11], s[0:1], 0x28
	s_load_b128 s[4:7], s[0:1], 0x0
	v_lshlrev_b32_e32 v1, 6, v0
	s_mov_b32 s19, -1
	v_lshrrev_b32_e32 v67, 5, v0
	v_lshlrev_b32_e32 v10, 5, v0
                                        ; implicit-def: $vgpr35
                                        ; implicit-def: $vgpr59
                                        ; implicit-def: $vgpr34
                                        ; implicit-def: $vgpr58
                                        ; implicit-def: $vgpr33
                                        ; implicit-def: $vgpr57
                                        ; implicit-def: $vgpr32
                                        ; implicit-def: $vgpr56
                                        ; implicit-def: $vgpr31
                                        ; implicit-def: $vgpr55
                                        ; implicit-def: $vgpr30
                                        ; implicit-def: $vgpr54
                                        ; implicit-def: $vgpr29
                                        ; implicit-def: $vgpr53
                                        ; implicit-def: $vgpr28
                                        ; implicit-def: $vgpr52
                                        ; implicit-def: $vgpr51
                                        ; implicit-def: $vgpr50
                                        ; implicit-def: $vgpr49
                                        ; implicit-def: $vgpr48
                                        ; implicit-def: $vgpr47
                                        ; implicit-def: $vgpr46
                                        ; implicit-def: $vgpr45
                                        ; implicit-def: $vgpr44
	s_delay_alu instid0(VALU_DEP_2) | instskip(NEXT) | instid1(VALU_DEP_1)
	v_lshlrev_b32_e32 v11, 10, v67
	v_sub_nc_u32_e32 v66, v10, v11
	s_waitcnt lgkmcnt(0)
	s_mul_hi_i32 s3, s11, s15
	s_mul_i32 s2, s11, s15
	s_sub_i32 s12, s8, s15
	s_lshl_b64 s[2:3], s[2:3], 1
	s_sub_i32 s13, 0x400, s10
	s_min_i32 s12, s12, 1
	s_add_u32 s16, s6, s2
	s_mul_i32 s6, s12, s11
	s_addc_u32 s7, s7, s3
	s_lshl_b32 s18, s6, 1
	s_and_b32 s17, s7, 0xffff
	s_clause 0x3
	buffer_load_b128 v[2:5], v1, s[16:19], 0 offen
	buffer_load_b128 v[6:9], v1, s[16:19], 16 offen
	;; [unrolled: 1-line block ×4, first 2 shown]
	v_cmp_le_i32_e32 vcc_lo, s13, v66
	s_waitcnt vmcnt(3)
	v_and_b32_e32 v64, 0xffff, v2
	v_lshrrev_b32_e32 v65, 16, v2
	v_and_b32_e32 v62, 0xffff, v3
	v_lshrrev_b32_e32 v63, 16, v3
	v_and_b32_e32 v60, 0xffff, v4
	v_lshrrev_b32_e32 v61, 16, v4
	v_and_b32_e32 v42, 0xffff, v5
	v_lshrrev_b32_e32 v43, 16, v5
	s_waitcnt vmcnt(2)
	v_and_b32_e32 v40, 0xffff, v6
	v_lshrrev_b32_e32 v41, 16, v6
	v_and_b32_e32 v38, 0xffff, v7
	v_lshrrev_b32_e32 v39, 16, v7
	v_and_b32_e32 v36, 0xffff, v8
	v_lshrrev_b32_e32 v37, 16, v8
	v_and_b32_e32 v18, 0xffff, v9
	v_lshrrev_b32_e32 v19, 16, v9
	;; [unrolled: 9-line block ×4, first 2 shown]
                                        ; implicit-def: $vgpr27
                                        ; implicit-def: $vgpr26
                                        ; implicit-def: $vgpr25
                                        ; implicit-def: $vgpr24
                                        ; implicit-def: $vgpr23
                                        ; implicit-def: $vgpr22
                                        ; implicit-def: $vgpr21
                                        ; implicit-def: $vgpr20
	s_and_saveexec_b32 s6, vcc_lo
	s_delay_alu instid0(SALU_CYCLE_1)
	s_xor_b32 s6, exec_lo, s6
	s_cbranch_execz .LBB32_2
; %bb.1:
	v_cvt_f32_u32_e32 v49, v61
	v_add_nc_u32_e32 v20, s15, v67
	s_add_i32 s7, s8, -1
	v_cvt_f32_u32_e32 v47, v63
	s_load_b64 s[14:15], s[0:1], 0x20
	v_subrev_nc_u32_e32 v23, s13, v66
	v_cmp_gt_i32_e32 vcc_lo, s8, v20
	v_cvt_f32_u32_e32 v43, v43
	v_cvt_f32_u32_e32 v41, v41
	;; [unrolled: 1-line block ×3, first 2 shown]
	v_lshrrev_b32_e32 v24, 31, v23
	v_cndmask_b32_e32 v20, s7, v20, vcc_lo
	s_ctz_i32_b32 s7, s9
	v_cvt_f32_u32_e32 v37, v37
	v_cvt_f32_u32_e32 v39, v39
	;; [unrolled: 1-line block ×3, first 2 shown]
	v_ashrrev_i32_e32 v20, s7, v20
	s_lshr_b32 s7, s10, 31
	v_cvt_f32_u32_e32 v45, v64
	s_add_i32 s7, s10, s7
	s_load_b128 s[8:11], s[0:1], 0x10
	v_ashrrev_i32_e32 v21, 31, v20
	s_ashr_i32 s0, s7, 1
	v_cvt_f32_u32_e32 v46, v62
	s_ashr_i32 s1, s0, 31
	v_cvt_f32_u32_e32 v19, v19
	v_lshlrev_b64 v[20:21], 3, v[20:21]
	v_cvt_f32_u32_e32 v17, v17
	v_cvt_f32_u32_e32 v13, v13
	;; [unrolled: 1-line block ×5, first 2 shown]
	s_waitcnt lgkmcnt(0)
	v_add_co_u32 v20, vcc_lo, s14, v20
	v_add_co_ci_u32_e32 v21, vcc_lo, s15, v21, vcc_lo
	v_cvt_f32_u32_e32 v7, v7
	v_cvt_f32_u32_e32 v5, v5
	;; [unrolled: 1-line block ×3, first 2 shown]
	global_load_b64 v[20:21], v[20:21], off
	v_cvt_f32_u32_e32 v42, v42
	v_cvt_f32_u32_e32 v40, v40
	;; [unrolled: 1-line block ×13, first 2 shown]
	s_waitcnt vmcnt(0)
	v_mul_lo_u32 v25, v21, s0
	v_mul_lo_u32 v26, v20, s1
	v_mad_u64_u32 v[21:22], null, v20, s0, 0
	v_add_nc_u32_e32 v20, v23, v24
	s_delay_alu instid0(VALU_DEP_1) | instskip(NEXT) | instid1(VALU_DEP_3)
	v_ashrrev_i32_e32 v23, 1, v20
	v_add3_u32 v22, v22, v26, v25
	s_delay_alu instid0(VALU_DEP_2) | instskip(NEXT) | instid1(VALU_DEP_2)
	v_ashrrev_i32_e32 v24, 31, v23
	v_lshlrev_b64 v[20:21], 1, v[21:22]
	s_delay_alu instid0(VALU_DEP_2) | instskip(NEXT) | instid1(VALU_DEP_2)
	v_lshlrev_b64 v[22:23], 1, v[23:24]
	v_add_co_u32 v24, vcc_lo, s8, v20
	s_delay_alu instid0(VALU_DEP_3) | instskip(SKIP_2) | instid1(VALU_DEP_4)
	v_add_co_ci_u32_e32 v25, vcc_lo, s9, v21, vcc_lo
	v_add_co_u32 v20, vcc_lo, s10, v20
	v_add_co_ci_u32_e32 v21, vcc_lo, s11, v21, vcc_lo
	v_add_co_u32 v28, vcc_lo, v24, v22
	s_delay_alu instid0(VALU_DEP_4) | instskip(NEXT) | instid1(VALU_DEP_4)
	v_add_co_ci_u32_e32 v29, vcc_lo, v25, v23, vcc_lo
	v_add_co_u32 v32, vcc_lo, v20, v22
	s_delay_alu instid0(VALU_DEP_4)
	v_add_co_ci_u32_e32 v33, vcc_lo, v21, v23, vcc_lo
	global_load_b128 v[20:23], v[28:29], off
	global_load_b128 v[24:27], v[32:33], off
	global_load_b128 v[28:31], v[28:29], off offset:16
	global_load_b128 v[32:35], v[32:33], off offset:16
	s_waitcnt vmcnt(3)
	v_and_b32_e32 v52, 0xffff, v21
	v_lshrrev_b32_e32 v21, 16, v21
	s_waitcnt vmcnt(2)
	v_and_b32_e32 v57, 0xffff, v27
	v_and_b32_e32 v55, 0xffff, v26
	v_lshrrev_b32_e32 v26, 16, v26
	v_lshrrev_b32_e32 v27, 16, v27
	v_cvt_f32_u32_e32 v68, v21
	v_cvt_f32_u32_e32 v57, v57
	v_and_b32_e32 v56, 0xffff, v23
	v_lshrrev_b32_e32 v23, 16, v23
	v_cvt_f32_u32_e32 v55, v55
	v_and_b32_e32 v54, 0xffff, v22
	v_lshrrev_b32_e32 v22, 16, v22
	v_cvt_f32_u32_e32 v71, v26
	v_cvt_f32_u32_e32 v72, v23
	v_mul_f32_e32 v23, v68, v43
	v_cvt_f32_u32_e32 v52, v52
	v_and_b32_e32 v51, 0xffff, v24
	v_cvt_f32_u32_e32 v70, v22
	v_lshrrev_b32_e32 v24, 16, v24
	s_waitcnt vmcnt(1)
	v_and_b32_e32 v58, 0xffff, v28
	v_mul_f32_e32 v22, v52, v49
	v_cvt_f32_u32_e32 v51, v51
	v_and_b32_e32 v53, 0xffff, v25
	v_lshrrev_b32_e32 v25, 16, v25
	v_cvt_f32_u32_e32 v67, v24
	v_and_b32_e32 v60, 0xffff, v29
	v_mul_f32_e32 v82, v51, v44
	v_cvt_f32_u32_e32 v53, v53
	v_cvt_f32_u32_e32 v69, v25
	v_dual_mul_f32 v25, v70, v39 :: v_dual_and_b32 v50, 0xffff, v20
	v_lshrrev_b32_e32 v20, 16, v20
	v_mul_f32_e32 v83, v67, v47
	v_lshrrev_b32_e32 v28, 16, v28
	s_waitcnt vmcnt(0)
	v_dual_fmac_f32 v22, v53, v48 :: v_dual_and_b32 v61, 0xffff, v33
	v_cvt_f32_u32_e32 v66, v20
	v_lshrrev_b32_e32 v29, 16, v29
	v_lshrrev_b32_e32 v33, 16, v33
	v_cvt_f32_u32_e32 v73, v27
	s_delay_alu instid0(VALU_DEP_4)
	v_dual_mul_f32 v21, v66, v47 :: v_dual_and_b32 v62, 0xffff, v30
	v_mul_f32_e32 v47, v53, v49
	v_mul_f32_e32 v49, v69, v43
	;; [unrolled: 1-line block ×3, first 2 shown]
	v_cvt_f32_u32_e32 v54, v54
	v_lshrrev_b32_e32 v30, 16, v30
	v_cvt_f32_u32_e32 v60, v60
	v_and_b32_e32 v65, 0xffff, v35
	v_lshrrev_b32_e32 v35, 16, v35
	v_dual_mul_f32 v24, v54, v41 :: v_dual_mul_f32 v41, v71, v39
	v_mul_f32_e32 v39, v57, v37
	v_cvt_f32_u32_e32 v56, v56
	v_and_b32_e32 v59, 0xffff, v32
	v_lshrrev_b32_e32 v32, 16, v32
	v_cvt_f32_u32_e32 v58, v58
	v_and_b32_e32 v63, 0xffff, v34
	v_lshrrev_b32_e32 v34, 16, v34
	v_mul_f32_e32 v26, v56, v37
	v_cvt_f32_u32_e32 v59, v59
	v_and_b32_e32 v64, 0xffff, v31
	v_lshrrev_b32_e32 v31, 16, v31
	v_cvt_f32_u32_e32 v50, v50
	v_cvt_f32_u32_e32 v74, v28
	;; [unrolled: 1-line block ×10, first 2 shown]
	v_mul_f32_e32 v37, v73, v19
	v_cvt_f32_u32_e32 v62, v62
	v_mul_f32_e32 v27, v72, v19
	v_mul_f32_e32 v19, v59, v17
	v_cvt_f32_u32_e32 v64, v64
	v_mul_f32_e32 v28, v58, v17
	;; [unrolled: 3-line block ×3, first 2 shown]
	v_cvt_f32_u32_e32 v65, v65
	v_dual_mul_f32 v20, v50, v44 :: v_dual_mul_f32 v17, v75, v15
	v_dual_mul_f32 v34, v64, v5 :: v_dual_mul_f32 v29, v74, v15
	v_dual_mul_f32 v15, v61, v13 :: v_dual_fmac_f32 v24, v55, v40
	v_dual_mul_f32 v13, v77, v11 :: v_dual_fmac_f32 v28, v59, v16
	;; [unrolled: 1-line block ×6, first 2 shown]
	v_mul_f32_e32 v7, v65, v5
	v_mul_f32_e32 v5, v81, v3
	;; [unrolled: 1-line block ×3, first 2 shown]
	v_fma_f32 v44, v50, v45, -v82
	v_fmac_f32_e32 v20, v51, v45
	v_fma_f32 v45, v66, v46, -v83
	v_fmac_f32_e32 v21, v67, v46
	v_fma_f32 v46, v52, v48, -v47
	v_fma_f32 v47, v68, v42, -v49
	v_fmac_f32_e32 v23, v69, v42
	v_fma_f32 v48, v54, v40, -v43
	v_fma_f32 v49, v70, v38, -v41
	v_fmac_f32_e32 v25, v71, v38
	v_fma_f32 v50, v56, v36, -v39
	v_fma_f32 v51, v72, v18, -v37
	v_fmac_f32_e32 v27, v73, v18
	v_fma_f32 v52, v58, v16, -v19
	v_fma_f32 v53, v74, v14, -v17
	v_fmac_f32_e32 v29, v75, v14
	v_fma_f32 v54, v60, v12, -v15
	v_fma_f32 v55, v76, v10, -v13
	v_fmac_f32_e32 v31, v77, v10
	v_fma_f32 v56, v62, v8, -v11
	v_fma_f32 v57, v78, v6, -v9
	v_fmac_f32_e32 v33, v79, v6
	v_fma_f32 v58, v64, v4, -v7
	v_fma_f32 v59, v80, v2, -v5
	v_fmac_f32_e32 v35, v81, v2
                                        ; implicit-def: $vgpr64
                                        ; implicit-def: $vgpr65
                                        ; implicit-def: $vgpr62
                                        ; implicit-def: $vgpr63
                                        ; implicit-def: $vgpr60
                                        ; implicit-def: $vgpr61
                                        ; implicit-def: $vgpr42
                                        ; implicit-def: $vgpr43
                                        ; implicit-def: $vgpr40
                                        ; implicit-def: $vgpr41
                                        ; implicit-def: $vgpr38
                                        ; implicit-def: $vgpr39
                                        ; implicit-def: $vgpr36
                                        ; implicit-def: $vgpr37
                                        ; implicit-def: $vgpr18
                                        ; implicit-def: $vgpr19
                                        ; implicit-def: $vgpr16
                                        ; implicit-def: $vgpr17
                                        ; implicit-def: $vgpr14
                                        ; implicit-def: $vgpr15
                                        ; implicit-def: $vgpr12
                                        ; implicit-def: $vgpr13
                                        ; implicit-def: $vgpr10
                                        ; implicit-def: $vgpr11
                                        ; implicit-def: $vgpr8
                                        ; implicit-def: $vgpr9
                                        ; implicit-def: $vgpr6
                                        ; implicit-def: $vgpr7
                                        ; implicit-def: $vgpr4
                                        ; implicit-def: $vgpr5
                                        ; implicit-def: $vgpr2
                                        ; implicit-def: $vgpr3
.LBB32_2:
	s_and_not1_saveexec_b32 s0, s6
	s_cbranch_execz .LBB32_4
; %bb.3:
	v_cvt_f32_u32_e32 v44, v64
	v_cvt_f32_u32_e32 v20, v65
	;; [unrolled: 1-line block ×32, first 2 shown]
.LBB32_4:
	s_or_b32 exec_lo, exec_lo, s0
	v_dual_add_f32 v2, v44, v20 :: v_dual_sub_f32 v5, v45, v21
	v_dual_sub_f32 v3, v44, v20 :: v_dual_add_f32 v4, v45, v21
	v_dual_add_f32 v6, v46, v22 :: v_dual_sub_f32 v9, v47, v23
	v_dual_sub_f32 v7, v46, v22 :: v_dual_add_f32 v8, v47, v23
	;; [unrolled: 2-line block ×8, first 2 shown]
	v_add_f32_e32 v34, v2, v4
	v_sub_f32_e32 v2, v2, v4
	v_add_f32_e32 v4, v3, v5
	v_sub_f32_e32 v3, v3, v5
	v_add_f32_e32 v5, v6, v8
	v_sub_f32_e32 v6, v6, v8
	v_add_f32_e32 v8, v7, v9
	v_sub_f32_e32 v7, v7, v9
	v_add_f32_e32 v9, v10, v12
	v_sub_f32_e32 v10, v10, v12
	v_add_f32_e32 v12, v11, v13
	v_sub_f32_e32 v11, v11, v13
	v_add_f32_e32 v13, v14, v16
	v_sub_f32_e32 v14, v14, v16
	v_add_f32_e32 v16, v15, v17
	v_sub_f32_e32 v15, v15, v17
	v_add_f32_e32 v17, v18, v20
	v_sub_f32_e32 v18, v18, v20
	v_add_f32_e32 v20, v19, v21
	v_sub_f32_e32 v19, v19, v21
	v_add_f32_e32 v21, v22, v24
	v_sub_f32_e32 v22, v22, v24
	v_add_f32_e32 v24, v23, v25
	v_sub_f32_e32 v23, v23, v25
	v_add_f32_e32 v25, v26, v28
	v_sub_f32_e32 v26, v26, v28
	v_add_f32_e32 v28, v27, v29
	v_sub_f32_e32 v27, v27, v29
	v_add_f32_e32 v29, v30, v32
	v_sub_f32_e32 v30, v30, v32
	v_add_f32_e32 v32, v31, v33
	v_sub_f32_e32 v31, v31, v33
	v_add_f32_e32 v33, v34, v5
	v_dual_sub_f32 v5, v34, v5 :: v_dual_add_f32 v34, v4, v8
	v_sub_f32_e32 v4, v4, v8
	v_add_f32_e32 v8, v2, v6
	v_sub_f32_e32 v2, v2, v6
	v_add_f32_e32 v6, v3, v7
	;; [unrolled: 2-line block ×16, first 2 shown]
	v_dual_sub_f32 v13, v34, v13 :: v_dual_add_f32 v34, v8, v16
	v_sub_f32_e32 v8, v8, v16
	v_add_f32_e32 v16, v6, v14
	v_sub_f32_e32 v6, v6, v14
	v_add_f32_e32 v14, v5, v9
	;; [unrolled: 2-line block ×16, first 2 shown]
	v_dual_sub_f32 v29, v34, v29 :: v_dual_add_f32 v34, v16, v32
	v_sub_f32_e32 v16, v16, v32
	v_add_f32_e32 v32, v14, v30
	v_sub_f32_e32 v14, v14, v30
	v_add_f32_e32 v30, v9, v25
	;; [unrolled: 2-line block ×7, first 2 shown]
	v_sub_f32_e32 v8, v8, v24
	v_sub_f32_dpp v35, v27, v27 quad_perm:[1,0,3,2] row_mask:0xf bank_mask:0xf bound_ctrl:1
	v_add_f32_dpp v27, v27, v27 quad_perm:[1,0,3,2] row_mask:0xf bank_mask:0xf bound_ctrl:1
	v_add_f32_e32 v24, v6, v22
	v_sub_f32_dpp v36, v31, v31 quad_perm:[1,0,3,2] row_mask:0xf bank_mask:0xf bound_ctrl:1
	v_add_f32_dpp v31, v31, v31 quad_perm:[1,0,3,2] row_mask:0xf bank_mask:0xf bound_ctrl:1
	v_sub_f32_e32 v6, v6, v22
	v_sub_f32_dpp v37, v33, v33 quad_perm:[1,0,3,2] row_mask:0xf bank_mask:0xf bound_ctrl:1
	v_add_f32_dpp v33, v33, v33 quad_perm:[1,0,3,2] row_mask:0xf bank_mask:0xf bound_ctrl:1
	v_sub_f32_dpp v38, v34, v34 quad_perm:[1,0,3,2] row_mask:0xf bank_mask:0xf bound_ctrl:1
	v_add_f32_e32 v22, v5, v17
	v_sub_f32_e32 v5, v5, v17
	v_add_f32_e32 v17, v4, v20
	v_sub_f32_e32 v4, v4, v20
	v_add_f32_e32 v20, v2, v18
	v_sub_f32_e32 v2, v2, v18
	v_add_f32_e32 v18, v3, v19
	v_sub_f32_e32 v3, v3, v19
	v_and_b32_e32 v19, 1, v0
	s_mov_b32 s1, 0x76543210
	s_delay_alu instid0(VALU_DEP_1)
	v_cmp_eq_u32_e32 vcc_lo, 0, v19
	v_add_f32_dpp v19, v34, v34 quad_perm:[1,0,3,2] row_mask:0xf bank_mask:0xf bound_ctrl:1
	v_sub_f32_dpp v34, v32, v32 quad_perm:[1,0,3,2] row_mask:0xf bank_mask:0xf bound_ctrl:1
	v_add_f32_dpp v32, v32, v32 quad_perm:[1,0,3,2] row_mask:0xf bank_mask:0xf bound_ctrl:1
	v_cndmask_b32_e32 v27, v35, v27, vcc_lo
	v_sub_f32_dpp v35, v25, v25 quad_perm:[1,0,3,2] row_mask:0xf bank_mask:0xf bound_ctrl:1
	v_add_f32_dpp v25, v25, v25 quad_perm:[1,0,3,2] row_mask:0xf bank_mask:0xf bound_ctrl:1
	v_cndmask_b32_e32 v33, v37, v33, vcc_lo
	;; [unrolled: 3-line block ×3, first 2 shown]
	v_cndmask_b32_e32 v25, v35, v25, vcc_lo
	v_sub_f32_dpp v35, v24, v24 quad_perm:[1,0,3,2] row_mask:0xf bank_mask:0xf bound_ctrl:1
	v_add_f32_dpp v24, v24, v24 quad_perm:[1,0,3,2] row_mask:0xf bank_mask:0xf bound_ctrl:1
	v_cndmask_b32_e32 v19, v38, v19, vcc_lo
	v_sub_f32_dpp v36, v28, v28 quad_perm:[1,0,3,2] row_mask:0xf bank_mask:0xf bound_ctrl:1
	v_add_f32_dpp v28, v28, v28 quad_perm:[1,0,3,2] row_mask:0xf bank_mask:0xf bound_ctrl:1
	v_sub_f32_dpp v38, v15, v15 quad_perm:[1,0,3,2] row_mask:0xf bank_mask:0xf bound_ctrl:1
	v_cndmask_b32_e32 v24, v35, v24, vcc_lo
	v_sub_f32_dpp v35, v11, v11 quad_perm:[1,0,3,2] row_mask:0xf bank_mask:0xf bound_ctrl:1
	v_add_f32_dpp v11, v11, v11 quad_perm:[1,0,3,2] row_mask:0xf bank_mask:0xf bound_ctrl:1
	v_cndmask_b32_e32 v32, v34, v32, vcc_lo
	v_add_f32_dpp v15, v15, v15 quad_perm:[1,0,3,2] row_mask:0xf bank_mask:0xf bound_ctrl:1
	v_cndmask_b32_e32 v28, v36, v28, vcc_lo
	v_sub_f32_dpp v34, v30, v30 quad_perm:[1,0,3,2] row_mask:0xf bank_mask:0xf bound_ctrl:1
	v_cndmask_b32_e32 v11, v35, v11, vcc_lo
	v_sub_f32_dpp v35, v9, v9 quad_perm:[1,0,3,2] row_mask:0xf bank_mask:0xf bound_ctrl:1
	v_cndmask_b32_e32 v15, v38, v15, vcc_lo
	v_add_f32_dpp v9, v9, v9 quad_perm:[1,0,3,2] row_mask:0xf bank_mask:0xf bound_ctrl:1
	v_cndmask_b32_e32 v26, v37, v26, vcc_lo
	v_sub_f32_dpp v37, v17, v17 quad_perm:[1,0,3,2] row_mask:0xf bank_mask:0xf bound_ctrl:1
	v_add_f32_dpp v17, v17, v17 quad_perm:[1,0,3,2] row_mask:0xf bank_mask:0xf bound_ctrl:1
	v_sub_f32_dpp v38, v20, v20 quad_perm:[1,0,3,2] row_mask:0xf bank_mask:0xf bound_ctrl:1
	v_cndmask_b32_e32 v9, v35, v9, vcc_lo
	v_add_f32_dpp v20, v20, v20 quad_perm:[1,0,3,2] row_mask:0xf bank_mask:0xf bound_ctrl:1
	v_add_f32_dpp v30, v30, v30 quad_perm:[1,0,3,2] row_mask:0xf bank_mask:0xf bound_ctrl:1
	v_cndmask_b32_e32 v17, v37, v17, vcc_lo
	v_sub_f32_dpp v37, v29, v29 quad_perm:[1,0,3,2] row_mask:0xf bank_mask:0xf bound_ctrl:1
	v_add_f32_dpp v29, v29, v29 quad_perm:[1,0,3,2] row_mask:0xf bank_mask:0xf bound_ctrl:1
	v_sub_f32_dpp v36, v22, v22 quad_perm:[1,0,3,2] row_mask:0xf bank_mask:0xf bound_ctrl:1
	v_add_f32_dpp v22, v22, v22 quad_perm:[1,0,3,2] row_mask:0xf bank_mask:0xf bound_ctrl:1
	v_sub_f32_dpp v35, v8, v8 quad_perm:[1,0,3,2] row_mask:0xf bank_mask:0xf bound_ctrl:1
	v_add_f32_dpp v8, v8, v8 quad_perm:[1,0,3,2] row_mask:0xf bank_mask:0xf bound_ctrl:1
	v_cndmask_b32_e32 v29, v37, v29, vcc_lo
	v_sub_f32_dpp v37, v10, v10 quad_perm:[1,0,3,2] row_mask:0xf bank_mask:0xf bound_ctrl:1
	v_add_f32_dpp v10, v10, v10 quad_perm:[1,0,3,2] row_mask:0xf bank_mask:0xf bound_ctrl:1
	v_sub_f32_dpp v39, v33, v33 quad_perm:[2,3,0,1] row_mask:0xf bank_mask:0xf bound_ctrl:1
	v_cndmask_b32_e32 v8, v35, v8, vcc_lo
	v_sub_f32_dpp v35, v3, v3 quad_perm:[1,0,3,2] row_mask:0xf bank_mask:0xf bound_ctrl:1
	v_add_f32_dpp v3, v3, v3 quad_perm:[1,0,3,2] row_mask:0xf bank_mask:0xf bound_ctrl:1
	v_cndmask_b32_e32 v10, v37, v10, vcc_lo
	v_sub_f32_dpp v37, v5, v5 quad_perm:[1,0,3,2] row_mask:0xf bank_mask:0xf bound_ctrl:1
	v_add_f32_dpp v5, v5, v5 quad_perm:[1,0,3,2] row_mask:0xf bank_mask:0xf bound_ctrl:1
	;; [unrolled: 3-line block ×3, first 2 shown]
	v_cndmask_b32_e32 v3, v35, v3, vcc_lo
	v_cndmask_b32_e32 v5, v37, v5, vcc_lo
	v_sub_f32_dpp v37, v27, v27 quad_perm:[2,3,0,1] row_mask:0xf bank_mask:0xf bound_ctrl:1
	v_add_f32_dpp v27, v27, v27 quad_perm:[2,3,0,1] row_mask:0xf bank_mask:0xf bound_ctrl:1
	v_cndmask_b32_e32 v16, v38, v16, vcc_lo
	v_sub_f32_dpp v38, v7, v7 quad_perm:[1,0,3,2] row_mask:0xf bank_mask:0xf bound_ctrl:1
	v_add_f32_dpp v7, v7, v7 quad_perm:[1,0,3,2] row_mask:0xf bank_mask:0xf bound_ctrl:1
	;; [unrolled: 3-line block ×4, first 2 shown]
	v_cndmask_b32_e32 v7, v38, v7, vcc_lo
	v_cndmask_b32_e32 v23, v36, v23, vcc_lo
	v_sub_f32_dpp v36, v12, v12 quad_perm:[1,0,3,2] row_mask:0xf bank_mask:0xf bound_ctrl:1
	v_add_f32_dpp v12, v12, v12 quad_perm:[1,0,3,2] row_mask:0xf bank_mask:0xf bound_ctrl:1
	v_cndmask_b32_e32 v21, v34, v21, vcc_lo
	v_sub_f32_dpp v34, v18, v18 quad_perm:[1,0,3,2] row_mask:0xf bank_mask:0xf bound_ctrl:1
	v_add_f32_dpp v18, v18, v18 quad_perm:[1,0,3,2] row_mask:0xf bank_mask:0xf bound_ctrl:1
	v_sub_f32_dpp v38, v4, v4 quad_perm:[1,0,3,2] row_mask:0xf bank_mask:0xf bound_ctrl:1
	v_add_f32_dpp v4, v4, v4 quad_perm:[1,0,3,2] row_mask:0xf bank_mask:0xf bound_ctrl:1
	;; [unrolled: 2-line block ×3, first 2 shown]
	v_cndmask_b32_e32 v18, v34, v18, vcc_lo
	v_sub_f32_dpp v34, v14, v14 quad_perm:[1,0,3,2] row_mask:0xf bank_mask:0xf bound_ctrl:1
	v_add_f32_dpp v14, v14, v14 quad_perm:[1,0,3,2] row_mask:0xf bank_mask:0xf bound_ctrl:1
	v_cndmask_b32_e32 v4, v38, v4, vcc_lo
	v_sub_f32_dpp v38, v31, v31 quad_perm:[2,3,0,1] row_mask:0xf bank_mask:0xf bound_ctrl:1
	v_add_f32_dpp v31, v31, v31 quad_perm:[2,3,0,1] row_mask:0xf bank_mask:0xf bound_ctrl:1
	v_add_f32_dpp v33, v33, v33 quad_perm:[2,3,0,1] row_mask:0xf bank_mask:0xf bound_ctrl:1
	v_cndmask_b32_e32 v14, v34, v14, vcc_lo
	v_sub_f32_dpp v34, v13, v13 quad_perm:[1,0,3,2] row_mask:0xf bank_mask:0xf bound_ctrl:1
	v_add_f32_dpp v13, v13, v13 quad_perm:[1,0,3,2] row_mask:0xf bank_mask:0xf bound_ctrl:1
	v_cndmask_b32_e32 v12, v36, v12, vcc_lo
	v_sub_f32_dpp v36, v6, v6 quad_perm:[1,0,3,2] row_mask:0xf bank_mask:0xf bound_ctrl:1
	v_add_f32_dpp v6, v6, v6 quad_perm:[1,0,3,2] row_mask:0xf bank_mask:0xf bound_ctrl:1
	s_delay_alu instid0(VALU_DEP_4) | instskip(SKIP_2) | instid1(VALU_DEP_4)
	v_cndmask_b32_e32 v13, v34, v13, vcc_lo
	v_sub_f32_dpp v34, v2, v2 quad_perm:[1,0,3,2] row_mask:0xf bank_mask:0xf bound_ctrl:1
	v_add_f32_dpp v2, v2, v2 quad_perm:[1,0,3,2] row_mask:0xf bank_mask:0xf bound_ctrl:1
	v_cndmask_b32_e32 v6, v36, v6, vcc_lo
	v_and_b32_e32 v36, 2, v0
	s_delay_alu instid0(VALU_DEP_3) | instskip(SKIP_1) | instid1(VALU_DEP_3)
	v_cndmask_b32_e32 v2, v34, v2, vcc_lo
	v_sub_f32_dpp v34, v19, v19 quad_perm:[2,3,0,1] row_mask:0xf bank_mask:0xf bound_ctrl:1
	v_cmp_eq_u32_e64 s0, 0, v36
	v_add_f32_dpp v19, v19, v19 quad_perm:[2,3,0,1] row_mask:0xf bank_mask:0xf bound_ctrl:1
	s_delay_alu instid0(VALU_DEP_2) | instskip(NEXT) | instid1(VALU_DEP_2)
	v_cndmask_b32_e64 v27, v37, v27, s0
	v_cndmask_b32_e64 v19, v34, v19, s0
	v_sub_f32_dpp v34, v26, v26 quad_perm:[2,3,0,1] row_mask:0xf bank_mask:0xf bound_ctrl:1
	v_add_f32_dpp v26, v26, v26 quad_perm:[2,3,0,1] row_mask:0xf bank_mask:0xf bound_ctrl:1
	v_sub_f32_dpp v37, v25, v25 quad_perm:[2,3,0,1] row_mask:0xf bank_mask:0xf bound_ctrl:1
	v_add_f32_dpp v25, v25, v25 quad_perm:[2,3,0,1] row_mask:0xf bank_mask:0xf bound_ctrl:1
	v_cndmask_b32_e64 v31, v38, v31, s0
	v_sub_f32_dpp v38, v28, v28 quad_perm:[2,3,0,1] row_mask:0xf bank_mask:0xf bound_ctrl:1
	v_cndmask_b32_e64 v26, v34, v26, s0
	v_sub_f32_dpp v34, v17, v17 quad_perm:[2,3,0,1] row_mask:0xf bank_mask:0xf bound_ctrl:1
	v_add_f32_dpp v17, v17, v17 quad_perm:[2,3,0,1] row_mask:0xf bank_mask:0xf bound_ctrl:1
	v_cndmask_b32_e64 v25, v37, v25, s0
	v_sub_f32_dpp v37, v24, v24 quad_perm:[2,3,0,1] row_mask:0xf bank_mask:0xf bound_ctrl:1
	v_add_f32_dpp v24, v24, v24 quad_perm:[2,3,0,1] row_mask:0xf bank_mask:0xf bound_ctrl:1
	v_add_f32_dpp v28, v28, v28 quad_perm:[2,3,0,1] row_mask:0xf bank_mask:0xf bound_ctrl:1
	v_cndmask_b32_e64 v17, v34, v17, s0
	v_sub_f32_dpp v34, v29, v29 quad_perm:[2,3,0,1] row_mask:0xf bank_mask:0xf bound_ctrl:1
	v_add_f32_dpp v29, v29, v29 quad_perm:[2,3,0,1] row_mask:0xf bank_mask:0xf bound_ctrl:1
	v_cndmask_b32_e64 v24, v37, v24, s0
	v_sub_f32_dpp v37, v11, v11 quad_perm:[2,3,0,1] row_mask:0xf bank_mask:0xf bound_ctrl:1
	v_add_f32_dpp v11, v11, v11 quad_perm:[2,3,0,1] row_mask:0xf bank_mask:0xf bound_ctrl:1
	v_cndmask_b32_e64 v28, v38, v28, s0
	v_cndmask_b32_e64 v29, v34, v29, s0
	v_sub_f32_dpp v34, v10, v10 quad_perm:[2,3,0,1] row_mask:0xf bank_mask:0xf bound_ctrl:1
	v_add_f32_dpp v10, v10, v10 quad_perm:[2,3,0,1] row_mask:0xf bank_mask:0xf bound_ctrl:1
	v_sub_f32_dpp v38, v22, v22 quad_perm:[2,3,0,1] row_mask:0xf bank_mask:0xf bound_ctrl:1
	v_add_f32_dpp v22, v22, v22 quad_perm:[2,3,0,1] row_mask:0xf bank_mask:0xf bound_ctrl:1
	v_cndmask_b32_e64 v11, v37, v11, s0
	v_sub_f32_dpp v37, v9, v9 quad_perm:[2,3,0,1] row_mask:0xf bank_mask:0xf bound_ctrl:1
	v_add_f32_dpp v9, v9, v9 quad_perm:[2,3,0,1] row_mask:0xf bank_mask:0xf bound_ctrl:1
	v_cndmask_b32_e64 v10, v34, v10, s0
	;; [unrolled: 3-line block ×5, first 2 shown]
	v_mov_b32_dpp v34, v31 row_shl:4 row_mask:0xf bank_mask:0x5 bound_ctrl:1
	v_cndmask_b32_e64 v32, v35, v32, s0
	v_sub_f32_dpp v35, v15, v15 quad_perm:[2,3,0,1] row_mask:0xf bank_mask:0xf bound_ctrl:1
	v_add_f32_dpp v15, v15, v15 quad_perm:[2,3,0,1] row_mask:0xf bank_mask:0xf bound_ctrl:1
	v_cndmask_b32_e64 v23, v38, v23, s0
	v_sub_f32_dpp v38, v12, v12 quad_perm:[2,3,0,1] row_mask:0xf bank_mask:0xf bound_ctrl:1
	v_add_f32_dpp v12, v12, v12 quad_perm:[2,3,0,1] row_mask:0xf bank_mask:0xf bound_ctrl:1
	v_cndmask_b32_e64 v8, v37, v8, s0
	v_mov_b32_dpp v37, v27 row_shl:4 row_mask:0xf bank_mask:0x5 bound_ctrl:1
	v_mov_b32_dpp v34, v31 row_shr:4 row_mask:0xf bank_mask:0xa bound_ctrl:1
	v_cndmask_b32_e64 v33, v39, v33, s0
	v_cndmask_b32_e64 v15, v35, v15, s0
	v_sub_f32_dpp v35, v20, v20 quad_perm:[2,3,0,1] row_mask:0xf bank_mask:0xf bound_ctrl:1
	v_add_f32_dpp v20, v20, v20 quad_perm:[2,3,0,1] row_mask:0xf bank_mask:0xf bound_ctrl:1
	v_cndmask_b32_e64 v12, v38, v12, s0
	v_sub_f32_dpp v38, v6, v6 quad_perm:[2,3,0,1] row_mask:0xf bank_mask:0xf bound_ctrl:1
	v_add_f32_dpp v6, v6, v6 quad_perm:[2,3,0,1] row_mask:0xf bank_mask:0xf bound_ctrl:1
	v_mov_b32_dpp v37, v27 row_shr:4 row_mask:0xf bank_mask:0xa bound_ctrl:1
	v_sub_f32_e32 v39, v34, v31
	v_add_f32_e32 v31, v31, v34
	v_mov_b32_dpp v34, v19 row_shl:4 row_mask:0xf bank_mask:0x5 bound_ctrl:1
	v_cndmask_b32_e64 v20, v35, v20, s0
	v_cndmask_b32_e64 v6, v38, v6, s0
	s_delay_alu instid0(VALU_DEP_3) | instskip(SKIP_4) | instid1(VALU_DEP_2)
	v_mov_b32_dpp v34, v19 row_shr:4 row_mask:0xf bank_mask:0xa bound_ctrl:1
	v_dual_sub_f32 v38, v37, v27 :: v_dual_add_f32 v27, v27, v37
	v_sub_f32_dpp v35, v16, v16 quad_perm:[2,3,0,1] row_mask:0xf bank_mask:0xf bound_ctrl:1
	v_add_f32_dpp v16, v16, v16 quad_perm:[2,3,0,1] row_mask:0xf bank_mask:0xf bound_ctrl:1
	v_mov_b32_dpp v37, v33 row_shl:4 row_mask:0xf bank_mask:0x5 bound_ctrl:1
	v_cndmask_b32_e64 v16, v35, v16, s0
	v_sub_f32_dpp v35, v7, v7 quad_perm:[2,3,0,1] row_mask:0xf bank_mask:0xf bound_ctrl:1
	v_add_f32_dpp v7, v7, v7 quad_perm:[2,3,0,1] row_mask:0xf bank_mask:0xf bound_ctrl:1
	s_delay_alu instid0(VALU_DEP_4) | instskip(NEXT) | instid1(VALU_DEP_2)
	v_mov_b32_dpp v37, v33 row_shr:4 row_mask:0xf bank_mask:0xa bound_ctrl:1
	v_cndmask_b32_e64 v7, v35, v7, s0
	v_sub_f32_dpp v35, v4, v4 quad_perm:[2,3,0,1] row_mask:0xf bank_mask:0xf bound_ctrl:1
	v_add_f32_dpp v4, v4, v4 quad_perm:[2,3,0,1] row_mask:0xf bank_mask:0xf bound_ctrl:1
	s_delay_alu instid0(VALU_DEP_1) | instskip(SKIP_2) | instid1(VALU_DEP_1)
	v_cndmask_b32_e64 v4, v35, v4, s0
	v_sub_f32_dpp v35, v3, v3 quad_perm:[2,3,0,1] row_mask:0xf bank_mask:0xf bound_ctrl:1
	v_add_f32_dpp v3, v3, v3 quad_perm:[2,3,0,1] row_mask:0xf bank_mask:0xf bound_ctrl:1
	v_cndmask_b32_e64 v3, v35, v3, s0
	v_sub_f32_e32 v35, v37, v33
	v_add_f32_e32 v33, v33, v37
	v_sub_f32_dpp v36, v30, v30 quad_perm:[2,3,0,1] row_mask:0xf bank_mask:0xf bound_ctrl:1
	v_add_f32_dpp v30, v30, v30 quad_perm:[2,3,0,1] row_mask:0xf bank_mask:0xf bound_ctrl:1
	v_sub_f32_e32 v37, v34, v19
	v_add_f32_e32 v19, v19, v34
	v_mov_b32_dpp v34, v25 row_shl:4 row_mask:0xf bank_mask:0x5 bound_ctrl:1
	s_delay_alu instid0(VALU_DEP_4) | instskip(SKIP_2) | instid1(VALU_DEP_4)
	v_cndmask_b32_e64 v30, v36, v30, s0
	v_sub_f32_dpp v36, v21, v21 quad_perm:[2,3,0,1] row_mask:0xf bank_mask:0xf bound_ctrl:1
	v_add_f32_dpp v21, v21, v21 quad_perm:[2,3,0,1] row_mask:0xf bank_mask:0xf bound_ctrl:1
	v_mov_b32_dpp v34, v25 row_shr:4 row_mask:0xf bank_mask:0xa bound_ctrl:1
	s_delay_alu instid0(VALU_DEP_2) | instskip(SKIP_2) | instid1(VALU_DEP_1)
	v_cndmask_b32_e64 v21, v36, v21, s0
	v_sub_f32_dpp v36, v18, v18 quad_perm:[2,3,0,1] row_mask:0xf bank_mask:0xf bound_ctrl:1
	v_add_f32_dpp v18, v18, v18 quad_perm:[2,3,0,1] row_mask:0xf bank_mask:0xf bound_ctrl:1
	v_cndmask_b32_e64 v18, v36, v18, s0
	v_sub_f32_dpp v36, v14, v14 quad_perm:[2,3,0,1] row_mask:0xf bank_mask:0xf bound_ctrl:1
	v_add_f32_dpp v14, v14, v14 quad_perm:[2,3,0,1] row_mask:0xf bank_mask:0xf bound_ctrl:1
	s_delay_alu instid0(VALU_DEP_1) | instskip(SKIP_2) | instid1(VALU_DEP_1)
	v_cndmask_b32_e64 v14, v36, v14, s0
	v_sub_f32_dpp v36, v13, v13 quad_perm:[2,3,0,1] row_mask:0xf bank_mask:0xf bound_ctrl:1
	v_add_f32_dpp v13, v13, v13 quad_perm:[2,3,0,1] row_mask:0xf bank_mask:0xf bound_ctrl:1
	v_cndmask_b32_e64 v13, v36, v13, s0
	v_sub_f32_dpp v36, v2, v2 quad_perm:[2,3,0,1] row_mask:0xf bank_mask:0xf bound_ctrl:1
	v_add_f32_dpp v2, v2, v2 quad_perm:[2,3,0,1] row_mask:0xf bank_mask:0xf bound_ctrl:1
	s_delay_alu instid0(VALU_DEP_1) | instskip(SKIP_1) | instid1(VALU_DEP_1)
	v_cndmask_b32_e64 v2, v36, v2, s0
	v_and_b32_e32 v36, 4, v0
	v_cmp_eq_u32_e32 vcc_lo, 0, v36
	v_mov_b32_dpp v36, v32 row_shl:4 row_mask:0xf bank_mask:0x5 bound_ctrl:1
	v_cndmask_b32_e32 v27, v38, v27, vcc_lo
	v_mov_b32_dpp v38, v30 row_shl:4 row_mask:0xf bank_mask:0x5 bound_ctrl:1
	s_delay_alu instid0(VALU_DEP_3)
	v_mov_b32_dpp v36, v32 row_shr:4 row_mask:0xf bank_mask:0xa bound_ctrl:1
	v_cndmask_b32_e32 v33, v35, v33, vcc_lo
	v_cndmask_b32_e32 v19, v37, v19, vcc_lo
	v_mov_b32_dpp v37, v28 row_shl:4 row_mask:0xf bank_mask:0x5 bound_ctrl:1
	v_mov_b32_dpp v38, v30 row_shr:4 row_mask:0xf bank_mask:0xa bound_ctrl:1
	v_sub_f32_e32 v35, v36, v32
	v_dual_add_f32 v32, v32, v36 :: v_dual_cndmask_b32 v31, v39, v31
	v_mov_b32_dpp v39, v26 row_shl:4 row_mask:0xf bank_mask:0x5 bound_ctrl:1
	s_delay_alu instid0(VALU_DEP_4) | instskip(SKIP_1) | instid1(VALU_DEP_4)
	v_sub_f32_e32 v36, v38, v30
	v_mov_b32_dpp v37, v28 row_shr:4 row_mask:0xf bank_mask:0xa bound_ctrl:1
	v_cndmask_b32_e32 v32, v35, v32, vcc_lo
	v_mov_b32_dpp v35, v15 row_shl:4 row_mask:0xf bank_mask:0x5 bound_ctrl:1
	v_mov_b32_dpp v39, v26 row_shr:4 row_mask:0xf bank_mask:0xa bound_ctrl:1
	s_delay_alu instid0(VALU_DEP_2) | instskip(SKIP_2) | instid1(VALU_DEP_1)
	v_mov_b32_dpp v35, v15 row_shr:4 row_mask:0xf bank_mask:0xa bound_ctrl:1
	v_add_f32_e32 v30, v30, v38
	v_dual_sub_f32 v38, v34, v25 :: v_dual_add_f32 v25, v25, v34
	v_dual_sub_f32 v34, v37, v28 :: v_dual_cndmask_b32 v25, v38, v25
	v_mov_b32_dpp v38, v24 row_shl:4 row_mask:0xf bank_mask:0x5 bound_ctrl:1
	s_delay_alu instid0(VALU_DEP_1) | instskip(SKIP_2) | instid1(VALU_DEP_2)
	v_mov_b32_dpp v38, v24 row_shr:4 row_mask:0xf bank_mask:0xa bound_ctrl:1
	v_add_f32_e32 v28, v28, v37
	v_mov_b32_dpp v37, v21 row_shl:4 row_mask:0xf bank_mask:0x5 bound_ctrl:1
	v_cndmask_b32_e32 v28, v34, v28, vcc_lo
	s_delay_alu instid0(VALU_DEP_2) | instskip(SKIP_3) | instid1(VALU_DEP_4)
	v_mov_b32_dpp v37, v21 row_shr:4 row_mask:0xf bank_mask:0xa bound_ctrl:1
	v_sub_f32_e32 v34, v35, v15
	v_dual_add_f32 v15, v15, v35 :: v_dual_cndmask_b32 v30, v36, v30
	v_sub_f32_e32 v36, v39, v26
	v_dual_add_f32 v26, v26, v39 :: v_dual_sub_f32 v35, v37, v21
	v_add_f32_e32 v21, v21, v37
	v_mov_b32_dpp v39, v17 row_shl:4 row_mask:0xf bank_mask:0x5 bound_ctrl:1
	s_delay_alu instid0(VALU_DEP_3)
	v_dual_sub_f32 v37, v38, v24 :: v_dual_cndmask_b32 v26, v36, v26
	v_cndmask_b32_e32 v15, v34, v15, vcc_lo
	v_mov_b32_dpp v36, v22 row_shl:4 row_mask:0xf bank_mask:0x5 bound_ctrl:1
	v_add_f32_e32 v24, v24, v38
	v_mov_b32_dpp v39, v17 row_shr:4 row_mask:0xf bank_mask:0xa bound_ctrl:1
	v_mov_b32_dpp v38, v11 row_shl:4 row_mask:0xf bank_mask:0x5 bound_ctrl:1
	v_cndmask_b32_e32 v21, v35, v21, vcc_lo
	v_mov_b32_dpp v36, v22 row_shr:4 row_mask:0xf bank_mask:0xa bound_ctrl:1
	v_mov_b32_dpp v35, v20 row_shl:4 row_mask:0xf bank_mask:0x5 bound_ctrl:1
	s_delay_alu instid0(VALU_DEP_4) | instskip(SKIP_1) | instid1(VALU_DEP_4)
	v_mov_b32_dpp v38, v11 row_shr:4 row_mask:0xf bank_mask:0xa bound_ctrl:1
	v_cndmask_b32_e32 v24, v37, v24, vcc_lo
	v_sub_f32_e32 v34, v36, v22
	v_add_f32_e32 v22, v22, v36
	v_sub_f32_e32 v36, v39, v17
	v_mov_b32_dpp v37, v18 row_shl:4 row_mask:0xf bank_mask:0x5 bound_ctrl:1
	v_add_f32_e32 v17, v17, v39
	v_mov_b32_dpp v35, v20 row_shr:4 row_mask:0xf bank_mask:0xa bound_ctrl:1
	v_mov_b32_dpp v39, v29 row_shl:4 row_mask:0xf bank_mask:0x5 bound_ctrl:1
	s_delay_alu instid0(VALU_DEP_4) | instskip(NEXT) | instid1(VALU_DEP_4)
	v_mov_b32_dpp v37, v18 row_shr:4 row_mask:0xf bank_mask:0xa bound_ctrl:1
	v_cndmask_b32_e32 v17, v36, v17, vcc_lo
	v_mov_b32_dpp v36, v23 row_shl:4 row_mask:0xf bank_mask:0x5 bound_ctrl:1
	s_delay_alu instid0(VALU_DEP_4) | instskip(NEXT) | instid1(VALU_DEP_2)
	v_mov_b32_dpp v39, v29 row_shr:4 row_mask:0xf bank_mask:0xa bound_ctrl:1
	v_mov_b32_dpp v36, v23 row_shr:4 row_mask:0xf bank_mask:0xa bound_ctrl:1
	v_cndmask_b32_e32 v22, v34, v22, vcc_lo
	v_sub_f32_e32 v34, v35, v20
	v_dual_add_f32 v20, v20, v35 :: v_dual_sub_f32 v35, v37, v18
	v_add_f32_e32 v18, v18, v37
	v_sub_f32_e32 v37, v38, v11
	v_add_f32_e32 v11, v11, v38
	v_mov_b32_dpp v38, v9 row_shl:4 row_mask:0xf bank_mask:0x5 bound_ctrl:1
	v_cndmask_b32_e32 v20, v34, v20, vcc_lo
	v_dual_sub_f32 v34, v36, v23 :: v_dual_add_f32 v23, v23, v36
	s_delay_alu instid0(VALU_DEP_4)
	v_cndmask_b32_e32 v11, v37, v11, vcc_lo
	v_mov_b32_dpp v37, v14 row_shl:4 row_mask:0xf bank_mask:0x5 bound_ctrl:1
	v_mov_b32_dpp v38, v9 row_shr:4 row_mask:0xf bank_mask:0xa bound_ctrl:1
	v_cndmask_b32_e32 v18, v35, v18, vcc_lo
	v_mov_b32_dpp v35, v16 row_shl:4 row_mask:0xf bank_mask:0x5 bound_ctrl:1
	v_dual_sub_f32 v36, v39, v29 :: v_dual_add_f32 v29, v29, v39
	v_mov_b32_dpp v37, v14 row_shr:4 row_mask:0xf bank_mask:0xa bound_ctrl:1
	v_cndmask_b32_e32 v23, v34, v23, vcc_lo
	s_delay_alu instid0(VALU_DEP_4) | instskip(SKIP_3) | instid1(VALU_DEP_4)
	v_mov_b32_dpp v35, v16 row_shr:4 row_mask:0xf bank_mask:0xa bound_ctrl:1
	v_mov_b32_dpp v39, v10 row_shl:4 row_mask:0xf bank_mask:0x5 bound_ctrl:1
	v_cndmask_b32_e32 v29, v36, v29, vcc_lo
	v_mov_b32_dpp v36, v12 row_shl:4 row_mask:0xf bank_mask:0x5 bound_ctrl:1
	v_sub_f32_e32 v34, v35, v16
	v_dual_add_f32 v16, v16, v35 :: v_dual_sub_f32 v35, v37, v14
	v_add_f32_e32 v14, v14, v37
	v_sub_f32_e32 v37, v38, v9
	v_add_f32_e32 v9, v9, v38
	v_mov_b32_dpp v36, v12 row_shr:4 row_mask:0xf bank_mask:0xa bound_ctrl:1
	v_cndmask_b32_e32 v16, v34, v16, vcc_lo
	v_cndmask_b32_e32 v14, v35, v14, vcc_lo
	v_mov_b32_dpp v35, v7 row_shl:4 row_mask:0xf bank_mask:0x5 bound_ctrl:1
	v_cndmask_b32_e32 v9, v37, v9, vcc_lo
	v_mov_b32_dpp v37, v13 row_shl:4 row_mask:0xf bank_mask:0x5 bound_ctrl:1
	v_sub_f32_e32 v34, v36, v12
	v_add_f32_e32 v12, v12, v36
	v_mov_b32_dpp v35, v7 row_shr:4 row_mask:0xf bank_mask:0xa bound_ctrl:1
	v_mov_b32_dpp v39, v10 row_shr:4 row_mask:0xf bank_mask:0xa bound_ctrl:1
	;; [unrolled: 1-line block ×3, first 2 shown]
	v_mov_b32_dpp v38, v8 row_shl:4 row_mask:0xf bank_mask:0x5 bound_ctrl:1
	v_cndmask_b32_e32 v12, v34, v12, vcc_lo
	v_sub_f32_e32 v34, v35, v7
	v_add_f32_e32 v7, v7, v35
	v_sub_f32_e32 v35, v37, v13
	v_dual_add_f32 v13, v13, v37 :: v_dual_sub_f32 v36, v39, v10
	v_mov_b32_dpp v38, v8 row_shr:4 row_mask:0xf bank_mask:0xa bound_ctrl:1
	v_mov_b32_dpp v37, v6 row_shl:4 row_mask:0xf bank_mask:0x5 bound_ctrl:1
	v_cndmask_b32_e32 v7, v34, v7, vcc_lo
	s_delay_alu instid0(VALU_DEP_4) | instskip(SKIP_3) | instid1(VALU_DEP_3)
	v_cndmask_b32_e32 v13, v35, v13, vcc_lo
	v_mov_b32_dpp v35, v4 row_shl:4 row_mask:0xf bank_mask:0x5 bound_ctrl:1
	v_mov_b32_dpp v34, v5 row_shl:4 row_mask:0xf bank_mask:0x5 bound_ctrl:1
	v_mov_b32_dpp v37, v6 row_shr:4 row_mask:0xf bank_mask:0xa bound_ctrl:1
	v_mov_b32_dpp v35, v4 row_shr:4 row_mask:0xf bank_mask:0xa bound_ctrl:1
	v_add_f32_e32 v10, v10, v39
	s_delay_alu instid0(VALU_DEP_4) | instskip(NEXT) | instid1(VALU_DEP_2)
	v_mov_b32_dpp v34, v5 row_shr:4 row_mask:0xf bank_mask:0xa bound_ctrl:1
	v_dual_sub_f32 v39, v35, v4 :: v_dual_cndmask_b32 v10, v36, v10
	v_sub_f32_e32 v36, v38, v8
	v_add_f32_e32 v8, v8, v38
	v_sub_f32_e32 v38, v37, v6
	v_add_f32_e32 v6, v6, v37
	v_sub_f32_e32 v37, v34, v5
	s_delay_alu instid0(VALU_DEP_4) | instskip(SKIP_2) | instid1(VALU_DEP_3)
	v_dual_add_f32 v5, v5, v34 :: v_dual_cndmask_b32 v8, v36, v8
	v_mov_b32_dpp v36, v2 row_shl:4 row_mask:0xf bank_mask:0x5 bound_ctrl:1
	v_mov_b32_dpp v34, v3 row_shl:4 row_mask:0xf bank_mask:0x5 bound_ctrl:1
	v_dual_add_f32 v4, v4, v35 :: v_dual_cndmask_b32 v5, v37, v5
	v_sub_f32_dpp v37, v31, v31 row_ror:8 row_mask:0xf bank_mask:0xf bound_ctrl:1
	s_delay_alu instid0(VALU_DEP_4) | instskip(NEXT) | instid1(VALU_DEP_4)
	v_mov_b32_dpp v36, v2 row_shr:4 row_mask:0xf bank_mask:0xa bound_ctrl:1
	v_mov_b32_dpp v34, v3 row_shr:4 row_mask:0xf bank_mask:0xa bound_ctrl:1
	s_delay_alu instid0(VALU_DEP_4) | instskip(SKIP_1) | instid1(VALU_DEP_4)
	v_cndmask_b32_e32 v4, v39, v4, vcc_lo
	v_add_f32_dpp v31, v31, v31 row_ror:8 row_mask:0xf bank_mask:0xf bound_ctrl:1
	v_dual_sub_f32 v35, v36, v2 :: v_dual_add_f32 v2, v2, v36
	v_sub_f32_dpp v36, v27, v27 row_ror:8 row_mask:0xf bank_mask:0xf bound_ctrl:1
	v_add_f32_dpp v27, v27, v27 row_ror:8 row_mask:0xf bank_mask:0xf bound_ctrl:1
	s_delay_alu instid0(VALU_DEP_3) | instskip(SKIP_1) | instid1(VALU_DEP_1)
	v_dual_cndmask_b32 v2, v35, v2 :: v_dual_sub_f32 v35, v34, v3
	v_dual_add_f32 v3, v3, v34 :: v_dual_and_b32 v34, 8, v0
	v_dual_cndmask_b32 v3, v35, v3 :: v_dual_and_b32 v0, 16, v0
	s_delay_alu instid0(VALU_DEP_2)
	v_cmp_eq_u32_e64 s0, 0, v34
	v_sub_f32_dpp v34, v19, v19 row_ror:8 row_mask:0xf bank_mask:0xf bound_ctrl:1
	v_add_f32_dpp v19, v19, v19 row_ror:8 row_mask:0xf bank_mask:0xf bound_ctrl:1
	v_sub_f32_dpp v35, v30, v30 row_ror:8 row_mask:0xf bank_mask:0xf bound_ctrl:1
	v_add_f32_dpp v30, v30, v30 row_ror:8 row_mask:0xf bank_mask:0xf bound_ctrl:1
	v_cndmask_b32_e64 v27, v36, v27, s0
	v_sub_f32_dpp v36, v25, v25 row_ror:8 row_mask:0xf bank_mask:0xf bound_ctrl:1
	v_cndmask_b32_e64 v19, v34, v19, s0
	v_sub_f32_dpp v34, v32, v32 row_ror:8 row_mask:0xf bank_mask:0xf bound_ctrl:1
	v_add_f32_dpp v32, v32, v32 row_ror:8 row_mask:0xf bank_mask:0xf bound_ctrl:1
	v_add_f32_dpp v25, v25, v25 row_ror:8 row_mask:0xf bank_mask:0xf bound_ctrl:1
	v_cndmask_b32_e64 v30, v35, v30, s0
	v_sub_f32_dpp v35, v21, v21 row_ror:8 row_mask:0xf bank_mask:0xf bound_ctrl:1
	v_add_f32_dpp v21, v21, v21 row_ror:8 row_mask:0xf bank_mask:0xf bound_ctrl:1
	v_cndmask_b32_e64 v32, v34, v32, s0
	v_sub_f32_dpp v34, v15, v15 row_ror:8 row_mask:0xf bank_mask:0xf bound_ctrl:1
	;; [unrolled: 3-line block ×3, first 2 shown]
	v_add_f32_dpp v24, v24, v24 row_ror:8 row_mask:0xf bank_mask:0xf bound_ctrl:1
	v_cndmask_b32_e64 v31, v37, v31, s0
	v_cndmask_b32_e64 v15, v34, v15, s0
	v_sub_f32_dpp v34, v20, v20 row_ror:8 row_mask:0xf bank_mask:0xf bound_ctrl:1
	v_add_f32_dpp v20, v20, v20 row_ror:8 row_mask:0xf bank_mask:0xf bound_ctrl:1
	v_cndmask_b32_e64 v24, v36, v24, s0
	v_sub_f32_dpp v36, v11, v11 row_ror:8 row_mask:0xf bank_mask:0xf bound_ctrl:1
	v_add_f32_dpp v11, v11, v11 row_ror:8 row_mask:0xf bank_mask:0xf bound_ctrl:1
	v_sub_f32_dpp v37, v28, v28 row_ror:8 row_mask:0xf bank_mask:0xf bound_ctrl:1
	v_cndmask_b32_e64 v20, v34, v20, s0
	v_sub_f32_dpp v34, v16, v16 row_ror:8 row_mask:0xf bank_mask:0xf bound_ctrl:1
	v_add_f32_dpp v16, v16, v16 row_ror:8 row_mask:0xf bank_mask:0xf bound_ctrl:1
	v_cndmask_b32_e64 v11, v36, v11, s0
	v_sub_f32_dpp v36, v9, v9 row_ror:8 row_mask:0xf bank_mask:0xf bound_ctrl:1
	v_add_f32_dpp v9, v9, v9 row_ror:8 row_mask:0xf bank_mask:0xf bound_ctrl:1
	v_add_f32_dpp v28, v28, v28 row_ror:8 row_mask:0xf bank_mask:0xf bound_ctrl:1
	v_cndmask_b32_e64 v16, v34, v16, s0
	v_sub_f32_dpp v34, v7, v7 row_ror:8 row_mask:0xf bank_mask:0xf bound_ctrl:1
	v_add_f32_dpp v7, v7, v7 row_ror:8 row_mask:0xf bank_mask:0xf bound_ctrl:1
	v_cndmask_b32_e64 v21, v35, v21, s0
	v_sub_f32_dpp v35, v18, v18 row_ror:8 row_mask:0xf bank_mask:0xf bound_ctrl:1
	v_add_f32_dpp v18, v18, v18 row_ror:8 row_mask:0xf bank_mask:0xf bound_ctrl:1
	v_cndmask_b32_e64 v9, v36, v9, s0
	v_sub_f32_dpp v36, v8, v8 row_ror:8 row_mask:0xf bank_mask:0xf bound_ctrl:1
	v_add_f32_dpp v8, v8, v8 row_ror:8 row_mask:0xf bank_mask:0xf bound_ctrl:1
	v_cndmask_b32_e64 v7, v34, v7, s0
	v_sub_f32_dpp v34, v4, v4 row_ror:8 row_mask:0xf bank_mask:0xf bound_ctrl:1
	v_add_f32_dpp v4, v4, v4 row_ror:8 row_mask:0xf bank_mask:0xf bound_ctrl:1
	v_cndmask_b32_e64 v28, v37, v28, s0
	v_sub_f32_dpp v37, v22, v22 row_ror:8 row_mask:0xf bank_mask:0xf bound_ctrl:1
	v_add_f32_dpp v22, v22, v22 row_ror:8 row_mask:0xf bank_mask:0xf bound_ctrl:1
	v_cndmask_b32_e64 v18, v35, v18, s0
	v_sub_f32_dpp v35, v14, v14 row_ror:8 row_mask:0xf bank_mask:0xf bound_ctrl:1
	v_add_f32_dpp v14, v14, v14 row_ror:8 row_mask:0xf bank_mask:0xf bound_ctrl:1
	v_cndmask_b32_e64 v8, v36, v8, s0
	v_sub_f32_dpp v36, v3, v3 row_ror:8 row_mask:0xf bank_mask:0xf bound_ctrl:1
	v_add_f32_dpp v3, v3, v3 row_ror:8 row_mask:0xf bank_mask:0xf bound_ctrl:1
	v_cndmask_b32_e64 v4, v34, v4, s0
	v_permlanex16_b32 v34, v27, s1, 0xfedcba98 op_sel:[1,1]
	v_cndmask_b32_e32 v6, v38, v6, vcc_lo
	v_cndmask_b32_e64 v22, v37, v22, s0
	v_sub_f32_dpp v37, v23, v23 row_ror:8 row_mask:0xf bank_mask:0xf bound_ctrl:1
	v_add_f32_dpp v23, v23, v23 row_ror:8 row_mask:0xf bank_mask:0xf bound_ctrl:1
	v_cndmask_b32_e64 v14, v35, v14, s0
	v_sub_f32_dpp v35, v13, v13 row_ror:8 row_mask:0xf bank_mask:0xf bound_ctrl:1
	v_add_f32_dpp v13, v13, v13 row_ror:8 row_mask:0xf bank_mask:0xf bound_ctrl:1
	v_cndmask_b32_e64 v3, v36, v3, s0
	v_dual_sub_f32 v36, v34, v27 :: v_dual_add_f32 v27, v27, v34
	v_cmp_eq_u32_e32 vcc_lo, 0, v0
	v_cndmask_b32_e64 v23, v37, v23, s0
	v_sub_f32_dpp v37, v12, v12 row_ror:8 row_mask:0xf bank_mask:0xf bound_ctrl:1
	v_add_f32_dpp v12, v12, v12 row_ror:8 row_mask:0xf bank_mask:0xf bound_ctrl:1
	v_cndmask_b32_e64 v13, v35, v13, s0
	v_sub_f32_dpp v35, v2, v2 row_ror:8 row_mask:0xf bank_mask:0xf bound_ctrl:1
	v_add_f32_dpp v2, v2, v2 row_ror:8 row_mask:0xf bank_mask:0xf bound_ctrl:1
	v_cndmask_b32_e32 v27, v36, v27, vcc_lo
	v_sub_f32_dpp v38, v33, v33 row_ror:8 row_mask:0xf bank_mask:0xf bound_ctrl:1
	v_add_f32_dpp v33, v33, v33 row_ror:8 row_mask:0xf bank_mask:0xf bound_ctrl:1
	v_cndmask_b32_e64 v12, v37, v12, s0
	v_sub_f32_dpp v37, v6, v6 row_ror:8 row_mask:0xf bank_mask:0xf bound_ctrl:1
	v_add_f32_dpp v6, v6, v6 row_ror:8 row_mask:0xf bank_mask:0xf bound_ctrl:1
	v_cndmask_b32_e64 v2, v35, v2, s0
	v_cndmask_b32_e64 v33, v38, v33, s0
	v_permlanex16_b32 v35, v31, s1, 0xfedcba98 op_sel:[1,1]
	v_sub_f32_dpp v38, v26, v26 row_ror:8 row_mask:0xf bank_mask:0xf bound_ctrl:1
	v_add_f32_dpp v26, v26, v26 row_ror:8 row_mask:0xf bank_mask:0xf bound_ctrl:1
	v_cndmask_b32_e64 v6, v37, v6, s0
	v_permlanex16_b32 v37, v33, s1, 0xfedcba98 op_sel:[1,1]
	v_sub_f32_e32 v34, v35, v31
	v_add_f32_e32 v31, v31, v35
	v_cndmask_b32_e64 v26, v38, v26, s0
	v_sub_f32_dpp v38, v17, v17 row_ror:8 row_mask:0xf bank_mask:0xf bound_ctrl:1
	v_add_f32_dpp v17, v17, v17 row_ror:8 row_mask:0xf bank_mask:0xf bound_ctrl:1
	v_sub_f32_e32 v0, v37, v33
	v_add_f32_e32 v33, v33, v37
	v_permlanex16_b32 v35, v19, s1, 0xfedcba98 op_sel:[1,1]
	v_cndmask_b32_e32 v31, v34, v31, vcc_lo
	v_permlanex16_b32 v34, v32, s1, 0xfedcba98 op_sel:[1,1]
	v_cndmask_b32_e64 v17, v38, v17, s0
	v_cndmask_b32_e32 v0, v0, v33, vcc_lo
	v_permlanex16_b32 v33, v30, s1, 0xfedcba98 op_sel:[1,1]
	v_sub_f32_e32 v36, v35, v19
	v_add_f32_e32 v19, v19, v35
	v_dual_sub_f32 v35, v34, v32 :: v_dual_add_f32 v32, v32, v34
	s_delay_alu instid0(VALU_DEP_4) | instskip(SKIP_2) | instid1(VALU_DEP_4)
	v_sub_f32_e32 v34, v33, v30
	v_add_f32_e32 v30, v30, v33
	v_permlanex16_b32 v33, v25, s1, 0xfedcba98 op_sel:[1,1]
	v_dual_cndmask_b32 v19, v36, v19 :: v_dual_cndmask_b32 v32, v35, v32
	v_permlanex16_b32 v35, v28, s1, 0xfedcba98 op_sel:[1,1]
	s_delay_alu instid0(VALU_DEP_4)
	v_cndmask_b32_e32 v30, v34, v30, vcc_lo
	v_permlanex16_b32 v34, v26, s1, 0xfedcba98 op_sel:[1,1]
	v_sub_f32_e32 v36, v33, v25
	v_add_f32_e32 v25, v25, v33
	v_dual_sub_f32 v33, v35, v28 :: v_dual_add_f32 v28, v28, v35
	v_sub_f32_dpp v38, v29, v29 row_ror:8 row_mask:0xf bank_mask:0xf bound_ctrl:1
	v_add_f32_dpp v29, v29, v29 row_ror:8 row_mask:0xf bank_mask:0xf bound_ctrl:1
	v_sub_f32_e32 v35, v34, v26
	v_add_f32_e32 v26, v26, v34
	v_permlanex16_b32 v34, v15, s1, 0xfedcba98 op_sel:[1,1]
	v_cndmask_b32_e32 v28, v33, v28, vcc_lo
	v_permlanex16_b32 v33, v21, s1, 0xfedcba98 op_sel:[1,1]
	v_cndmask_b32_e64 v29, v38, v29, s0
	v_dual_cndmask_b32 v25, v36, v25 :: v_dual_cndmask_b32 v26, v35, v26
	v_permlanex16_b32 v35, v24, s1, 0xfedcba98 op_sel:[1,1]
	v_dual_sub_f32 v36, v34, v15 :: v_dual_add_f32 v15, v15, v34
	v_sub_f32_e32 v34, v33, v21
	v_add_f32_e32 v21, v21, v33
	s_delay_alu instid0(VALU_DEP_4) | instskip(SKIP_2) | instid1(VALU_DEP_4)
	v_dual_sub_f32 v33, v35, v24 :: v_dual_add_f32 v24, v24, v35
	v_permlanex16_b32 v35, v22, s1, 0xfedcba98 op_sel:[1,1]
	v_cndmask_b32_e32 v15, v36, v15, vcc_lo
	v_cndmask_b32_e32 v21, v34, v21, vcc_lo
	v_permlanex16_b32 v34, v17, s1, 0xfedcba98 op_sel:[1,1]
	v_cndmask_b32_e32 v24, v33, v24, vcc_lo
	v_permlanex16_b32 v33, v20, s1, 0xfedcba98 op_sel:[1,1]
	v_sub_f32_e32 v36, v35, v22
	v_add_f32_e32 v22, v22, v35
	v_sub_f32_e32 v35, v34, v17
	v_add_f32_e32 v17, v17, v34
	;; [unrolled: 2-line block ×3, first 2 shown]
	v_permlanex16_b32 v33, v18, s1, 0xfedcba98 op_sel:[1,1]
	v_sub_f32_dpp v38, v10, v10 row_ror:8 row_mask:0xf bank_mask:0xf bound_ctrl:1
	v_cndmask_b32_e32 v17, v35, v17, vcc_lo
	v_permlanex16_b32 v35, v11, s1, 0xfedcba98 op_sel:[1,1]
	v_add_f32_dpp v10, v10, v10 row_ror:8 row_mask:0xf bank_mask:0xf bound_ctrl:1
	v_cndmask_b32_e32 v22, v36, v22, vcc_lo
	v_cndmask_b32_e32 v20, v34, v20, vcc_lo
	v_permlanex16_b32 v34, v23, s1, 0xfedcba98 op_sel:[1,1]
	v_sub_f32_e32 v36, v33, v18
	v_dual_add_f32 v18, v18, v33 :: v_dual_sub_f32 v33, v35, v11
	v_add_f32_e32 v11, v11, v35
	v_cndmask_b32_e64 v10, v38, v10, s0
	v_sub_f32_dpp v38, v5, v5 row_ror:8 row_mask:0xf bank_mask:0xf bound_ctrl:1
	v_add_f32_dpp v5, v5, v5 row_ror:8 row_mask:0xf bank_mask:0xf bound_ctrl:1
	v_sub_f32_e32 v35, v34, v23
	v_add_f32_e32 v23, v23, v34
	v_permlanex16_b32 v34, v29, s1, 0xfedcba98 op_sel:[1,1]
	v_cndmask_b32_e32 v11, v33, v11, vcc_lo
	v_permlanex16_b32 v33, v16, s1, 0xfedcba98 op_sel:[1,1]
	v_cndmask_b32_e64 v5, v38, v5, s0
	v_dual_cndmask_b32 v18, v36, v18 :: v_dual_cndmask_b32 v23, v35, v23
	v_permlanex16_b32 v35, v14, s1, 0xfedcba98 op_sel:[1,1]
	v_dual_sub_f32 v36, v34, v29 :: v_dual_add_f32 v29, v29, v34
	v_sub_f32_e32 v34, v33, v16
	s_delay_alu instid0(VALU_DEP_3) | instskip(SKIP_2) | instid1(VALU_DEP_3)
	v_dual_add_f32 v16, v16, v33 :: v_dual_sub_f32 v33, v35, v14
	v_add_f32_e32 v14, v14, v35
	v_permlanex16_b32 v35, v9, s1, 0xfedcba98 op_sel:[1,1]
	v_dual_cndmask_b32 v29, v36, v29 :: v_dual_cndmask_b32 v16, v34, v16
	v_mul_f32_e32 v27, 0x3d000000, v27
	v_permlanex16_b32 v34, v12, s1, 0xfedcba98 op_sel:[1,1]
	v_dual_cndmask_b32 v14, v33, v14 :: v_dual_mul_f32 v31, 0x3d000000, v31
	v_permlanex16_b32 v33, v10, s1, 0xfedcba98 op_sel:[1,1]
	v_dual_sub_f32 v36, v35, v9 :: v_dual_add_f32 v9, v9, v35
	s_delay_alu instid0(VALU_DEP_4) | instskip(NEXT) | instid1(VALU_DEP_3)
	v_dual_sub_f32 v35, v34, v12 :: v_dual_add_f32 v12, v12, v34
	v_dual_mul_f32 v25, 0x3d000000, v25 :: v_dual_sub_f32 v34, v33, v10
	v_dual_mul_f32 v15, 0x3d000000, v15 :: v_dual_add_f32 v10, v10, v33
	v_mul_f32_e32 v11, 0x3d000000, v11
	v_permlanex16_b32 v33, v7, s1, 0xfedcba98 op_sel:[1,1]
	v_dual_cndmask_b32 v12, v35, v12 :: v_dual_mul_f32 v21, 0x3d000000, v21
	v_permlanex16_b32 v35, v13, s1, 0xfedcba98 op_sel:[1,1]
	v_dual_cndmask_b32 v9, v36, v9 :: v_dual_cndmask_b32 v10, v34, v10
	v_mul_f32_e32 v17, 0x3d000000, v17
	v_permlanex16_b32 v34, v8, s1, 0xfedcba98 op_sel:[1,1]
	v_dual_sub_f32 v36, v33, v7 :: v_dual_mul_f32 v29, 0x3d000000, v29
	v_add_f32_e32 v7, v7, v33
	v_sub_f32_e32 v33, v35, v13
	v_add_f32_e32 v13, v13, v35
	v_dual_sub_f32 v35, v34, v8 :: v_dual_add_f32 v8, v8, v34
	v_mul_f32_e32 v23, 0x3d000000, v23
	v_permlanex16_b32 v34, v6, s1, 0xfedcba98 op_sel:[1,1]
	s_delay_alu instid0(VALU_DEP_4) | instskip(SKIP_2) | instid1(VALU_DEP_4)
	v_cndmask_b32_e32 v13, v33, v13, vcc_lo
	v_permlanex16_b32 v33, v5, s1, 0xfedcba98 op_sel:[1,1]
	v_dual_cndmask_b32 v7, v36, v7 :: v_dual_cndmask_b32 v8, v35, v8
	v_sub_f32_e32 v35, v34, v6
	v_add_f32_e32 v6, v6, v34
	v_permlanex16_b32 v34, v4, s1, 0xfedcba98 op_sel:[1,1]
	v_sub_f32_e32 v36, v33, v5
	v_permlanex16_b32 v37, v2, s1, 0xfedcba98 op_sel:[1,1]
	v_add_f32_e32 v5, v5, v33
	v_permlanex16_b32 v33, v3, s1, 0xfedcba98 op_sel:[1,1]
	v_sub_f32_e32 v38, v34, v4
	v_add_f32_e32 v4, v4, v34
	v_sub_f32_e32 v34, v37, v2
	s_delay_alu instid0(VALU_DEP_4) | instskip(SKIP_2) | instid1(VALU_DEP_3)
	v_dual_add_f32 v2, v2, v37 :: v_dual_sub_f32 v37, v33, v3
	v_dual_add_f32 v3, v3, v33 :: v_dual_mul_f32 v0, 0x3d000000, v0
	v_mul_f32_e32 v30, 0x3d000000, v30
	v_cndmask_b32_e32 v2, v34, v2, vcc_lo
	s_delay_alu instid0(VALU_DEP_3)
	v_dual_mul_f32 v28, 0x3d000000, v28 :: v_dual_cndmask_b32 v33, v37, v3
	v_mul_f32_e32 v3, 0x3d000000, v19
	v_dual_mul_f32 v19, 0x3d000000, v32 :: v_dual_mul_f32 v32, 0x3d000000, v9
	v_dual_mul_f32 v9, 0x3d000000, v12 :: v_dual_cndmask_b32 v6, v35, v6
	v_mul_f32_e32 v35, 0x3d000000, v13
	v_dual_mul_f32 v13, 0x3d000000, v2 :: v_dual_cndmask_b32 v4, v38, v4
	v_mul_f32_e32 v26, 0x3d000000, v26
	s_delay_alu instid0(VALU_DEP_4)
	v_mul_f32_e32 v37, 0x3d000000, v6
	v_dual_cndmask_b32 v5, v36, v5 :: v_dual_mul_f32 v24, 0x3d000000, v24
	v_mul_f32_e32 v22, 0x3d000000, v22
	v_mul_f32_e32 v20, 0x3d000000, v20
	;; [unrolled: 1-line block ×10, first 2 shown]
	s_add_u32 s0, s4, s2
	v_perm_b32 v5, v28, v25, 0x7060302
	v_perm_b32 v4, v30, v19, 0x7060302
	;; [unrolled: 1-line block ×4, first 2 shown]
	v_mul_f32_e32 v0, 0x3d000000, v33
	s_addc_u32 s1, s5, s3
	s_lshl_b32 s2, s12, 11
	s_and_b32 s1, s1, 0xffff
	s_mov_b32 s3, -1
	v_perm_b32 v9, v10, v9, 0x7060302
	buffer_store_b128 v[2:5], v1, s[0:3], 0 offen
	v_perm_b32 v5, v18, v20, 0x7060302
	v_perm_b32 v4, v17, v22, 0x7060302
	;; [unrolled: 1-line block ×11, first 2 shown]
	;;#ASMSTART
	s_nop 0
	;;#ASMEND
	buffer_store_b128 v[2:5], v1, s[0:3], 16 offen
	;;#ASMSTART
	s_nop 0
	;;#ASMEND
	buffer_store_b128 v[6:9], v1, s[0:3], 32 offen
	;;#ASMSTART
	s_nop 0
	;;#ASMEND
	buffer_store_b128 v[10:13], v1, s[0:3], 48 offen
	;;#ASMSTART
	s_nop 0
	;;#ASMEND
	s_nop 0
	s_sendmsg sendmsg(MSG_DEALLOC_VGPRS)
	s_endpgm
	.section	.rodata,"a",@progbits
	.p2align	6, 0x0
	.amdhsa_kernel _ZN5aiter55rope_hadamard_rotate_activation_fp4quant_inplace_kernelItLi1024ELb0ELi32EEEvPT_PKS1_S4_S4_PKliiiii
		.amdhsa_group_segment_fixed_size 0
		.amdhsa_private_segment_fixed_size 0
		.amdhsa_kernarg_size 60
		.amdhsa_user_sgpr_count 15
		.amdhsa_user_sgpr_dispatch_ptr 0
		.amdhsa_user_sgpr_queue_ptr 0
		.amdhsa_user_sgpr_kernarg_segment_ptr 1
		.amdhsa_user_sgpr_dispatch_id 0
		.amdhsa_user_sgpr_private_segment_size 0
		.amdhsa_wavefront_size32 1
		.amdhsa_uses_dynamic_stack 0
		.amdhsa_enable_private_segment 0
		.amdhsa_system_sgpr_workgroup_id_x 1
		.amdhsa_system_sgpr_workgroup_id_y 0
		.amdhsa_system_sgpr_workgroup_id_z 0
		.amdhsa_system_sgpr_workgroup_info 0
		.amdhsa_system_vgpr_workitem_id 0
		.amdhsa_next_free_vgpr 84
		.amdhsa_next_free_sgpr 20
		.amdhsa_reserve_vcc 1
		.amdhsa_float_round_mode_32 0
		.amdhsa_float_round_mode_16_64 0
		.amdhsa_float_denorm_mode_32 3
		.amdhsa_float_denorm_mode_16_64 3
		.amdhsa_dx10_clamp 1
		.amdhsa_ieee_mode 1
		.amdhsa_fp16_overflow 0
		.amdhsa_workgroup_processor_mode 1
		.amdhsa_memory_ordered 1
		.amdhsa_forward_progress 0
		.amdhsa_shared_vgpr_count 0
		.amdhsa_exception_fp_ieee_invalid_op 0
		.amdhsa_exception_fp_denorm_src 0
		.amdhsa_exception_fp_ieee_div_zero 0
		.amdhsa_exception_fp_ieee_overflow 0
		.amdhsa_exception_fp_ieee_underflow 0
		.amdhsa_exception_fp_ieee_inexact 0
		.amdhsa_exception_int_div_zero 0
	.end_amdhsa_kernel
	.section	.text._ZN5aiter55rope_hadamard_rotate_activation_fp4quant_inplace_kernelItLi1024ELb0ELi32EEEvPT_PKS1_S4_S4_PKliiiii,"axG",@progbits,_ZN5aiter55rope_hadamard_rotate_activation_fp4quant_inplace_kernelItLi1024ELb0ELi32EEEvPT_PKS1_S4_S4_PKliiiii,comdat
.Lfunc_end32:
	.size	_ZN5aiter55rope_hadamard_rotate_activation_fp4quant_inplace_kernelItLi1024ELb0ELi32EEEvPT_PKS1_S4_S4_PKliiiii, .Lfunc_end32-_ZN5aiter55rope_hadamard_rotate_activation_fp4quant_inplace_kernelItLi1024ELb0ELi32EEEvPT_PKS1_S4_S4_PKliiiii
                                        ; -- End function
	.section	.AMDGPU.csdata,"",@progbits
; Kernel info:
; codeLenInByte = 6844
; NumSgprs: 22
; NumVgprs: 84
; ScratchSize: 0
; MemoryBound: 0
; FloatMode: 240
; IeeeMode: 1
; LDSByteSize: 0 bytes/workgroup (compile time only)
; SGPRBlocks: 2
; VGPRBlocks: 10
; NumSGPRsForWavesPerEU: 22
; NumVGPRsForWavesPerEU: 84
; Occupancy: 16
; WaveLimiterHint : 1
; COMPUTE_PGM_RSRC2:SCRATCH_EN: 0
; COMPUTE_PGM_RSRC2:USER_SGPR: 15
; COMPUTE_PGM_RSRC2:TRAP_HANDLER: 0
; COMPUTE_PGM_RSRC2:TGID_X_EN: 1
; COMPUTE_PGM_RSRC2:TGID_Y_EN: 0
; COMPUTE_PGM_RSRC2:TGID_Z_EN: 0
; COMPUTE_PGM_RSRC2:TIDIG_COMP_CNT: 0
	.text
	.p2alignl 7, 3214868480
	.fill 96, 4, 3214868480
	.type	__hip_cuid_d6b2b5d07037c6d9,@object ; @__hip_cuid_d6b2b5d07037c6d9
	.section	.bss,"aw",@nobits
	.globl	__hip_cuid_d6b2b5d07037c6d9
__hip_cuid_d6b2b5d07037c6d9:
	.byte	0                               ; 0x0
	.size	__hip_cuid_d6b2b5d07037c6d9, 1

	.ident	"AMD clang version 19.0.0git (https://github.com/RadeonOpenCompute/llvm-project roc-6.4.0 25133 c7fe45cf4b819c5991fe208aaa96edf142730f1d)"
	.section	".note.GNU-stack","",@progbits
	.addrsig
	.addrsig_sym __hip_cuid_d6b2b5d07037c6d9
	.amdgpu_metadata
---
amdhsa.kernels:
  - .args:           []
    .group_segment_fixed_size: 0
    .kernarg_segment_align: 4
    .kernarg_segment_size: 0
    .language:       OpenCL C
    .language_version:
      - 2
      - 0
    .max_flat_workgroup_size: 1024
    .name:           _ZN7ck_tileL11flush_cacheEv
    .private_segment_fixed_size: 0
    .sgpr_count:     0
    .sgpr_spill_count: 0
    .symbol:         _ZN7ck_tileL11flush_cacheEv.kd
    .uniform_work_group_size: 1
    .uses_dynamic_stack: false
    .vgpr_count:     0
    .vgpr_spill_count: 0
    .wavefront_size: 32
    .workgroup_processor_mode: 1
  - .args:
      - .actual_access:  write_only
        .address_space:  global
        .offset:         0
        .size:           8
        .value_kind:     global_buffer
      - .actual_access:  read_only
        .address_space:  global
        .offset:         8
        .size:           8
        .value_kind:     global_buffer
      - .offset:         16
        .size:           4
        .value_kind:     by_value
      - .offset:         20
        .size:           4
        .value_kind:     by_value
      - .offset:         24
        .size:           4
        .value_kind:     by_value
    .group_segment_fixed_size: 0
    .kernarg_segment_align: 8
    .kernarg_segment_size: 28
    .language:       OpenCL C
    .language_version:
      - 2
      - 0
    .max_flat_workgroup_size: 1024
    .name:           _ZN5aiter50hadamard_rotate_activation_fp4quant_inplace_kernelIDF16_Li128ELb1ELi16EEEvPT_PKS1_iii
    .private_segment_fixed_size: 0
    .sgpr_count:     16
    .sgpr_spill_count: 0
    .symbol:         _ZN5aiter50hadamard_rotate_activation_fp4quant_inplace_kernelIDF16_Li128ELb1ELi16EEEvPT_PKS1_iii.kd
    .uniform_work_group_size: 1
    .uses_dynamic_stack: false
    .vgpr_count:     5
    .vgpr_spill_count: 0
    .wavefront_size: 32
    .workgroup_processor_mode: 1
  - .args:
      - .actual_access:  write_only
        .address_space:  global
        .offset:         0
        .size:           8
        .value_kind:     global_buffer
      - .actual_access:  read_only
        .address_space:  global
        .offset:         8
        .size:           8
        .value_kind:     global_buffer
      - .offset:         16
        .size:           4
        .value_kind:     by_value
      - .offset:         20
        .size:           4
        .value_kind:     by_value
      - .offset:         24
        .size:           4
        .value_kind:     by_value
    .group_segment_fixed_size: 0
    .kernarg_segment_align: 8
    .kernarg_segment_size: 28
    .language:       OpenCL C
    .language_version:
      - 2
      - 0
    .max_flat_workgroup_size: 1024
    .name:           _ZN5aiter50hadamard_rotate_activation_fp4quant_inplace_kernelItLi128ELb1ELi16EEEvPT_PKS1_iii
    .private_segment_fixed_size: 0
    .sgpr_count:     16
    .sgpr_spill_count: 0
    .symbol:         _ZN5aiter50hadamard_rotate_activation_fp4quant_inplace_kernelItLi128ELb1ELi16EEEvPT_PKS1_iii.kd
    .uniform_work_group_size: 1
    .uses_dynamic_stack: false
    .vgpr_count:     5
    .vgpr_spill_count: 0
    .wavefront_size: 32
    .workgroup_processor_mode: 1
  - .args:
      - .actual_access:  write_only
        .address_space:  global
        .offset:         0
        .size:           8
        .value_kind:     global_buffer
      - .actual_access:  read_only
        .address_space:  global
        .offset:         8
        .size:           8
        .value_kind:     global_buffer
      - .offset:         16
        .size:           4
        .value_kind:     by_value
      - .offset:         20
        .size:           4
        .value_kind:     by_value
      - .offset:         24
        .size:           4
        .value_kind:     by_value
    .group_segment_fixed_size: 0
    .kernarg_segment_align: 8
    .kernarg_segment_size: 28
    .language:       OpenCL C
    .language_version:
      - 2
      - 0
    .max_flat_workgroup_size: 1024
    .name:           _ZN5aiter50hadamard_rotate_activation_fp4quant_inplace_kernelIDF16_Li256ELb1ELi16EEEvPT_PKS1_iii
    .private_segment_fixed_size: 0
    .sgpr_count:     16
    .sgpr_spill_count: 0
    .symbol:         _ZN5aiter50hadamard_rotate_activation_fp4quant_inplace_kernelIDF16_Li256ELb1ELi16EEEvPT_PKS1_iii.kd
    .uniform_work_group_size: 1
    .uses_dynamic_stack: false
    .vgpr_count:     5
    .vgpr_spill_count: 0
    .wavefront_size: 32
    .workgroup_processor_mode: 1
  - .args:
      - .actual_access:  write_only
        .address_space:  global
        .offset:         0
        .size:           8
        .value_kind:     global_buffer
      - .actual_access:  read_only
        .address_space:  global
        .offset:         8
        .size:           8
        .value_kind:     global_buffer
      - .offset:         16
        .size:           4
        .value_kind:     by_value
      - .offset:         20
        .size:           4
        .value_kind:     by_value
      - .offset:         24
        .size:           4
        .value_kind:     by_value
    .group_segment_fixed_size: 0
    .kernarg_segment_align: 8
    .kernarg_segment_size: 28
    .language:       OpenCL C
    .language_version:
      - 2
      - 0
    .max_flat_workgroup_size: 1024
    .name:           _ZN5aiter50hadamard_rotate_activation_fp4quant_inplace_kernelItLi256ELb1ELi16EEEvPT_PKS1_iii
    .private_segment_fixed_size: 0
    .sgpr_count:     16
    .sgpr_spill_count: 0
    .symbol:         _ZN5aiter50hadamard_rotate_activation_fp4quant_inplace_kernelItLi256ELb1ELi16EEEvPT_PKS1_iii.kd
    .uniform_work_group_size: 1
    .uses_dynamic_stack: false
    .vgpr_count:     5
    .vgpr_spill_count: 0
    .wavefront_size: 32
    .workgroup_processor_mode: 1
  - .args:
      - .actual_access:  write_only
        .address_space:  global
        .offset:         0
        .size:           8
        .value_kind:     global_buffer
      - .actual_access:  read_only
        .address_space:  global
        .offset:         8
        .size:           8
        .value_kind:     global_buffer
      - .offset:         16
        .size:           4
        .value_kind:     by_value
      - .offset:         20
        .size:           4
        .value_kind:     by_value
      - .offset:         24
        .size:           4
        .value_kind:     by_value
    .group_segment_fixed_size: 0
    .kernarg_segment_align: 8
    .kernarg_segment_size: 28
    .language:       OpenCL C
    .language_version:
      - 2
      - 0
    .max_flat_workgroup_size: 1024
    .name:           _ZN5aiter50hadamard_rotate_activation_fp4quant_inplace_kernelIDF16_Li512ELb1ELi16EEEvPT_PKS1_iii
    .private_segment_fixed_size: 0
    .sgpr_count:     16
    .sgpr_spill_count: 0
    .symbol:         _ZN5aiter50hadamard_rotate_activation_fp4quant_inplace_kernelIDF16_Li512ELb1ELi16EEEvPT_PKS1_iii.kd
    .uniform_work_group_size: 1
    .uses_dynamic_stack: false
    .vgpr_count:     5
    .vgpr_spill_count: 0
    .wavefront_size: 32
    .workgroup_processor_mode: 1
  - .args:
      - .actual_access:  write_only
        .address_space:  global
        .offset:         0
        .size:           8
        .value_kind:     global_buffer
      - .actual_access:  read_only
        .address_space:  global
        .offset:         8
        .size:           8
        .value_kind:     global_buffer
      - .offset:         16
        .size:           4
        .value_kind:     by_value
      - .offset:         20
        .size:           4
        .value_kind:     by_value
      - .offset:         24
        .size:           4
        .value_kind:     by_value
    .group_segment_fixed_size: 0
    .kernarg_segment_align: 8
    .kernarg_segment_size: 28
    .language:       OpenCL C
    .language_version:
      - 2
      - 0
    .max_flat_workgroup_size: 1024
    .name:           _ZN5aiter50hadamard_rotate_activation_fp4quant_inplace_kernelItLi512ELb1ELi16EEEvPT_PKS1_iii
    .private_segment_fixed_size: 0
    .sgpr_count:     16
    .sgpr_spill_count: 0
    .symbol:         _ZN5aiter50hadamard_rotate_activation_fp4quant_inplace_kernelItLi512ELb1ELi16EEEvPT_PKS1_iii.kd
    .uniform_work_group_size: 1
    .uses_dynamic_stack: false
    .vgpr_count:     5
    .vgpr_spill_count: 0
    .wavefront_size: 32
    .workgroup_processor_mode: 1
  - .args:
      - .actual_access:  write_only
        .address_space:  global
        .offset:         0
        .size:           8
        .value_kind:     global_buffer
      - .actual_access:  read_only
        .address_space:  global
        .offset:         8
        .size:           8
        .value_kind:     global_buffer
      - .offset:         16
        .size:           4
        .value_kind:     by_value
      - .offset:         20
        .size:           4
        .value_kind:     by_value
      - .offset:         24
        .size:           4
        .value_kind:     by_value
    .group_segment_fixed_size: 0
    .kernarg_segment_align: 8
    .kernarg_segment_size: 28
    .language:       OpenCL C
    .language_version:
      - 2
      - 0
    .max_flat_workgroup_size: 1024
    .name:           _ZN5aiter50hadamard_rotate_activation_fp4quant_inplace_kernelIDF16_Li1024ELb1ELi32EEEvPT_PKS1_iii
    .private_segment_fixed_size: 0
    .sgpr_count:     16
    .sgpr_spill_count: 0
    .symbol:         _ZN5aiter50hadamard_rotate_activation_fp4quant_inplace_kernelIDF16_Li1024ELb1ELi32EEEvPT_PKS1_iii.kd
    .uniform_work_group_size: 1
    .uses_dynamic_stack: false
    .vgpr_count:     5
    .vgpr_spill_count: 0
    .wavefront_size: 32
    .workgroup_processor_mode: 1
  - .args:
      - .actual_access:  write_only
        .address_space:  global
        .offset:         0
        .size:           8
        .value_kind:     global_buffer
      - .actual_access:  read_only
        .address_space:  global
        .offset:         8
        .size:           8
        .value_kind:     global_buffer
      - .offset:         16
        .size:           4
        .value_kind:     by_value
      - .offset:         20
        .size:           4
        .value_kind:     by_value
      - .offset:         24
        .size:           4
        .value_kind:     by_value
    .group_segment_fixed_size: 0
    .kernarg_segment_align: 8
    .kernarg_segment_size: 28
    .language:       OpenCL C
    .language_version:
      - 2
      - 0
    .max_flat_workgroup_size: 1024
    .name:           _ZN5aiter50hadamard_rotate_activation_fp4quant_inplace_kernelItLi1024ELb1ELi32EEEvPT_PKS1_iii
    .private_segment_fixed_size: 0
    .sgpr_count:     16
    .sgpr_spill_count: 0
    .symbol:         _ZN5aiter50hadamard_rotate_activation_fp4quant_inplace_kernelItLi1024ELb1ELi32EEEvPT_PKS1_iii.kd
    .uniform_work_group_size: 1
    .uses_dynamic_stack: false
    .vgpr_count:     5
    .vgpr_spill_count: 0
    .wavefront_size: 32
    .workgroup_processor_mode: 1
  - .args:
      - .actual_access:  write_only
        .address_space:  global
        .offset:         0
        .size:           8
        .value_kind:     global_buffer
      - .actual_access:  read_only
        .address_space:  global
        .offset:         8
        .size:           8
        .value_kind:     global_buffer
      - .offset:         16
        .size:           4
        .value_kind:     by_value
      - .offset:         20
        .size:           4
        .value_kind:     by_value
      - .offset:         24
        .size:           4
        .value_kind:     by_value
    .group_segment_fixed_size: 0
    .kernarg_segment_align: 8
    .kernarg_segment_size: 28
    .language:       OpenCL C
    .language_version:
      - 2
      - 0
    .max_flat_workgroup_size: 1024
    .name:           _ZN5aiter50hadamard_rotate_activation_fp4quant_inplace_kernelIDF16_Li128ELb0ELi16EEEvPT_PKS1_iii
    .private_segment_fixed_size: 0
    .sgpr_count:     18
    .sgpr_spill_count: 0
    .symbol:         _ZN5aiter50hadamard_rotate_activation_fp4quant_inplace_kernelIDF16_Li128ELb0ELi16EEEvPT_PKS1_iii.kd
    .uniform_work_group_size: 1
    .uses_dynamic_stack: false
    .vgpr_count:     35
    .vgpr_spill_count: 0
    .wavefront_size: 32
    .workgroup_processor_mode: 1
  - .args:
      - .actual_access:  write_only
        .address_space:  global
        .offset:         0
        .size:           8
        .value_kind:     global_buffer
      - .actual_access:  read_only
        .address_space:  global
        .offset:         8
        .size:           8
        .value_kind:     global_buffer
      - .offset:         16
        .size:           4
        .value_kind:     by_value
      - .offset:         20
        .size:           4
        .value_kind:     by_value
      - .offset:         24
        .size:           4
        .value_kind:     by_value
    .group_segment_fixed_size: 0
    .kernarg_segment_align: 8
    .kernarg_segment_size: 28
    .language:       OpenCL C
    .language_version:
      - 2
      - 0
    .max_flat_workgroup_size: 1024
    .name:           _ZN5aiter50hadamard_rotate_activation_fp4quant_inplace_kernelItLi128ELb0ELi16EEEvPT_PKS1_iii
    .private_segment_fixed_size: 0
    .sgpr_count:     18
    .sgpr_spill_count: 0
    .symbol:         _ZN5aiter50hadamard_rotate_activation_fp4quant_inplace_kernelItLi128ELb0ELi16EEEvPT_PKS1_iii.kd
    .uniform_work_group_size: 1
    .uses_dynamic_stack: false
    .vgpr_count:     35
    .vgpr_spill_count: 0
    .wavefront_size: 32
    .workgroup_processor_mode: 1
  - .args:
      - .actual_access:  write_only
        .address_space:  global
        .offset:         0
        .size:           8
        .value_kind:     global_buffer
      - .actual_access:  read_only
        .address_space:  global
        .offset:         8
        .size:           8
        .value_kind:     global_buffer
      - .offset:         16
        .size:           4
        .value_kind:     by_value
      - .offset:         20
        .size:           4
        .value_kind:     by_value
      - .offset:         24
        .size:           4
        .value_kind:     by_value
    .group_segment_fixed_size: 0
    .kernarg_segment_align: 8
    .kernarg_segment_size: 28
    .language:       OpenCL C
    .language_version:
      - 2
      - 0
    .max_flat_workgroup_size: 1024
    .name:           _ZN5aiter50hadamard_rotate_activation_fp4quant_inplace_kernelIDF16_Li256ELb0ELi16EEEvPT_PKS1_iii
    .private_segment_fixed_size: 0
    .sgpr_count:     18
    .sgpr_spill_count: 0
    .symbol:         _ZN5aiter50hadamard_rotate_activation_fp4quant_inplace_kernelIDF16_Li256ELb0ELi16EEEvPT_PKS1_iii.kd
    .uniform_work_group_size: 1
    .uses_dynamic_stack: false
    .vgpr_count:     36
    .vgpr_spill_count: 0
    .wavefront_size: 32
    .workgroup_processor_mode: 1
  - .args:
      - .actual_access:  write_only
        .address_space:  global
        .offset:         0
        .size:           8
        .value_kind:     global_buffer
      - .actual_access:  read_only
        .address_space:  global
        .offset:         8
        .size:           8
        .value_kind:     global_buffer
      - .offset:         16
        .size:           4
        .value_kind:     by_value
      - .offset:         20
        .size:           4
        .value_kind:     by_value
      - .offset:         24
        .size:           4
        .value_kind:     by_value
    .group_segment_fixed_size: 0
    .kernarg_segment_align: 8
    .kernarg_segment_size: 28
    .language:       OpenCL C
    .language_version:
      - 2
      - 0
    .max_flat_workgroup_size: 1024
    .name:           _ZN5aiter50hadamard_rotate_activation_fp4quant_inplace_kernelItLi256ELb0ELi16EEEvPT_PKS1_iii
    .private_segment_fixed_size: 0
    .sgpr_count:     18
    .sgpr_spill_count: 0
    .symbol:         _ZN5aiter50hadamard_rotate_activation_fp4quant_inplace_kernelItLi256ELb0ELi16EEEvPT_PKS1_iii.kd
    .uniform_work_group_size: 1
    .uses_dynamic_stack: false
    .vgpr_count:     36
    .vgpr_spill_count: 0
    .wavefront_size: 32
    .workgroup_processor_mode: 1
  - .args:
      - .actual_access:  write_only
        .address_space:  global
        .offset:         0
        .size:           8
        .value_kind:     global_buffer
      - .actual_access:  read_only
        .address_space:  global
        .offset:         8
        .size:           8
        .value_kind:     global_buffer
      - .offset:         16
        .size:           4
        .value_kind:     by_value
      - .offset:         20
        .size:           4
        .value_kind:     by_value
      - .offset:         24
        .size:           4
        .value_kind:     by_value
    .group_segment_fixed_size: 0
    .kernarg_segment_align: 8
    .kernarg_segment_size: 28
    .language:       OpenCL C
    .language_version:
      - 2
      - 0
    .max_flat_workgroup_size: 1024
    .name:           _ZN5aiter50hadamard_rotate_activation_fp4quant_inplace_kernelIDF16_Li512ELb0ELi16EEEvPT_PKS1_iii
    .private_segment_fixed_size: 0
    .sgpr_count:     18
    .sgpr_spill_count: 0
    .symbol:         _ZN5aiter50hadamard_rotate_activation_fp4quant_inplace_kernelIDF16_Li512ELb0ELi16EEEvPT_PKS1_iii.kd
    .uniform_work_group_size: 1
    .uses_dynamic_stack: false
    .vgpr_count:     37
    .vgpr_spill_count: 0
    .wavefront_size: 32
    .workgroup_processor_mode: 1
  - .args:
      - .actual_access:  write_only
        .address_space:  global
        .offset:         0
        .size:           8
        .value_kind:     global_buffer
      - .actual_access:  read_only
        .address_space:  global
        .offset:         8
        .size:           8
        .value_kind:     global_buffer
      - .offset:         16
        .size:           4
        .value_kind:     by_value
      - .offset:         20
        .size:           4
        .value_kind:     by_value
      - .offset:         24
        .size:           4
        .value_kind:     by_value
    .group_segment_fixed_size: 0
    .kernarg_segment_align: 8
    .kernarg_segment_size: 28
    .language:       OpenCL C
    .language_version:
      - 2
      - 0
    .max_flat_workgroup_size: 1024
    .name:           _ZN5aiter50hadamard_rotate_activation_fp4quant_inplace_kernelItLi512ELb0ELi16EEEvPT_PKS1_iii
    .private_segment_fixed_size: 0
    .sgpr_count:     18
    .sgpr_spill_count: 0
    .symbol:         _ZN5aiter50hadamard_rotate_activation_fp4quant_inplace_kernelItLi512ELb0ELi16EEEvPT_PKS1_iii.kd
    .uniform_work_group_size: 1
    .uses_dynamic_stack: false
    .vgpr_count:     37
    .vgpr_spill_count: 0
    .wavefront_size: 32
    .workgroup_processor_mode: 1
  - .args:
      - .actual_access:  write_only
        .address_space:  global
        .offset:         0
        .size:           8
        .value_kind:     global_buffer
      - .actual_access:  read_only
        .address_space:  global
        .offset:         8
        .size:           8
        .value_kind:     global_buffer
      - .offset:         16
        .size:           4
        .value_kind:     by_value
      - .offset:         20
        .size:           4
        .value_kind:     by_value
      - .offset:         24
        .size:           4
        .value_kind:     by_value
    .group_segment_fixed_size: 0
    .kernarg_segment_align: 8
    .kernarg_segment_size: 28
    .language:       OpenCL C
    .language_version:
      - 2
      - 0
    .max_flat_workgroup_size: 1024
    .name:           _ZN5aiter50hadamard_rotate_activation_fp4quant_inplace_kernelIDF16_Li1024ELb0ELi32EEEvPT_PKS1_iii
    .private_segment_fixed_size: 0
    .sgpr_count:     18
    .sgpr_spill_count: 0
    .symbol:         _ZN5aiter50hadamard_rotate_activation_fp4quant_inplace_kernelIDF16_Li1024ELb0ELi32EEEvPT_PKS1_iii.kd
    .uniform_work_group_size: 1
    .uses_dynamic_stack: false
    .vgpr_count:     67
    .vgpr_spill_count: 0
    .wavefront_size: 32
    .workgroup_processor_mode: 1
  - .args:
      - .actual_access:  write_only
        .address_space:  global
        .offset:         0
        .size:           8
        .value_kind:     global_buffer
      - .actual_access:  read_only
        .address_space:  global
        .offset:         8
        .size:           8
        .value_kind:     global_buffer
      - .offset:         16
        .size:           4
        .value_kind:     by_value
      - .offset:         20
        .size:           4
        .value_kind:     by_value
      - .offset:         24
        .size:           4
        .value_kind:     by_value
    .group_segment_fixed_size: 0
    .kernarg_segment_align: 8
    .kernarg_segment_size: 28
    .language:       OpenCL C
    .language_version:
      - 2
      - 0
    .max_flat_workgroup_size: 1024
    .name:           _ZN5aiter50hadamard_rotate_activation_fp4quant_inplace_kernelItLi1024ELb0ELi32EEEvPT_PKS1_iii
    .private_segment_fixed_size: 0
    .sgpr_count:     18
    .sgpr_spill_count: 0
    .symbol:         _ZN5aiter50hadamard_rotate_activation_fp4quant_inplace_kernelItLi1024ELb0ELi32EEEvPT_PKS1_iii.kd
    .uniform_work_group_size: 1
    .uses_dynamic_stack: false
    .vgpr_count:     67
    .vgpr_spill_count: 0
    .wavefront_size: 32
    .workgroup_processor_mode: 1
  - .args:
      - .actual_access:  write_only
        .address_space:  global
        .offset:         0
        .size:           8
        .value_kind:     global_buffer
      - .actual_access:  read_only
        .address_space:  global
        .offset:         8
        .size:           8
        .value_kind:     global_buffer
      - .actual_access:  read_only
        .address_space:  global
        .offset:         16
        .size:           8
        .value_kind:     global_buffer
      - .actual_access:  read_only
        .address_space:  global
        .offset:         24
        .size:           8
        .value_kind:     global_buffer
      - .actual_access:  read_only
        .address_space:  global
        .offset:         32
        .size:           8
        .value_kind:     global_buffer
      - .offset:         40
        .size:           4
        .value_kind:     by_value
      - .offset:         44
        .size:           4
        .value_kind:     by_value
      - .offset:         48
        .size:           4
        .value_kind:     by_value
      - .offset:         52
        .size:           4
        .value_kind:     by_value
      - .offset:         56
        .size:           4
        .value_kind:     by_value
    .group_segment_fixed_size: 0
    .kernarg_segment_align: 8
    .kernarg_segment_size: 60
    .language:       OpenCL C
    .language_version:
      - 2
      - 0
    .max_flat_workgroup_size: 1024
    .name:           _ZN5aiter55rope_hadamard_rotate_activation_fp4quant_inplace_kernelIDF16_Li128ELb1ELi16EEEvPT_PKS1_S4_S4_PKliiiii
    .private_segment_fixed_size: 0
    .sgpr_count:     16
    .sgpr_spill_count: 0
    .symbol:         _ZN5aiter55rope_hadamard_rotate_activation_fp4quant_inplace_kernelIDF16_Li128ELb1ELi16EEEvPT_PKS1_S4_S4_PKliiiii.kd
    .uniform_work_group_size: 1
    .uses_dynamic_stack: false
    .vgpr_count:     5
    .vgpr_spill_count: 0
    .wavefront_size: 32
    .workgroup_processor_mode: 1
  - .args:
      - .actual_access:  write_only
        .address_space:  global
        .offset:         0
        .size:           8
        .value_kind:     global_buffer
      - .actual_access:  read_only
        .address_space:  global
        .offset:         8
        .size:           8
        .value_kind:     global_buffer
      - .actual_access:  read_only
        .address_space:  global
        .offset:         16
        .size:           8
        .value_kind:     global_buffer
      - .actual_access:  read_only
        .address_space:  global
        .offset:         24
        .size:           8
        .value_kind:     global_buffer
      - .actual_access:  read_only
        .address_space:  global
        .offset:         32
        .size:           8
        .value_kind:     global_buffer
      - .offset:         40
        .size:           4
        .value_kind:     by_value
      - .offset:         44
        .size:           4
        .value_kind:     by_value
      - .offset:         48
        .size:           4
        .value_kind:     by_value
      - .offset:         52
        .size:           4
        .value_kind:     by_value
      - .offset:         56
        .size:           4
        .value_kind:     by_value
    .group_segment_fixed_size: 0
    .kernarg_segment_align: 8
    .kernarg_segment_size: 60
    .language:       OpenCL C
    .language_version:
      - 2
      - 0
    .max_flat_workgroup_size: 1024
    .name:           _ZN5aiter55rope_hadamard_rotate_activation_fp4quant_inplace_kernelItLi128ELb1ELi16EEEvPT_PKS1_S4_S4_PKliiiii
    .private_segment_fixed_size: 0
    .sgpr_count:     16
    .sgpr_spill_count: 0
    .symbol:         _ZN5aiter55rope_hadamard_rotate_activation_fp4quant_inplace_kernelItLi128ELb1ELi16EEEvPT_PKS1_S4_S4_PKliiiii.kd
    .uniform_work_group_size: 1
    .uses_dynamic_stack: false
    .vgpr_count:     5
    .vgpr_spill_count: 0
    .wavefront_size: 32
    .workgroup_processor_mode: 1
  - .args:
      - .actual_access:  write_only
        .address_space:  global
        .offset:         0
        .size:           8
        .value_kind:     global_buffer
      - .actual_access:  read_only
        .address_space:  global
        .offset:         8
        .size:           8
        .value_kind:     global_buffer
      - .actual_access:  read_only
        .address_space:  global
        .offset:         16
        .size:           8
        .value_kind:     global_buffer
      - .actual_access:  read_only
        .address_space:  global
        .offset:         24
        .size:           8
        .value_kind:     global_buffer
      - .actual_access:  read_only
        .address_space:  global
        .offset:         32
        .size:           8
        .value_kind:     global_buffer
      - .offset:         40
        .size:           4
        .value_kind:     by_value
      - .offset:         44
        .size:           4
        .value_kind:     by_value
      - .offset:         48
        .size:           4
        .value_kind:     by_value
      - .offset:         52
        .size:           4
        .value_kind:     by_value
      - .offset:         56
        .size:           4
        .value_kind:     by_value
    .group_segment_fixed_size: 0
    .kernarg_segment_align: 8
    .kernarg_segment_size: 60
    .language:       OpenCL C
    .language_version:
      - 2
      - 0
    .max_flat_workgroup_size: 1024
    .name:           _ZN5aiter55rope_hadamard_rotate_activation_fp4quant_inplace_kernelIDF16_Li256ELb1ELi16EEEvPT_PKS1_S4_S4_PKliiiii
    .private_segment_fixed_size: 0
    .sgpr_count:     16
    .sgpr_spill_count: 0
    .symbol:         _ZN5aiter55rope_hadamard_rotate_activation_fp4quant_inplace_kernelIDF16_Li256ELb1ELi16EEEvPT_PKS1_S4_S4_PKliiiii.kd
    .uniform_work_group_size: 1
    .uses_dynamic_stack: false
    .vgpr_count:     5
    .vgpr_spill_count: 0
    .wavefront_size: 32
    .workgroup_processor_mode: 1
  - .args:
      - .actual_access:  write_only
        .address_space:  global
        .offset:         0
        .size:           8
        .value_kind:     global_buffer
      - .actual_access:  read_only
        .address_space:  global
        .offset:         8
        .size:           8
        .value_kind:     global_buffer
      - .actual_access:  read_only
        .address_space:  global
        .offset:         16
        .size:           8
        .value_kind:     global_buffer
      - .actual_access:  read_only
        .address_space:  global
        .offset:         24
        .size:           8
        .value_kind:     global_buffer
      - .actual_access:  read_only
        .address_space:  global
        .offset:         32
        .size:           8
        .value_kind:     global_buffer
      - .offset:         40
        .size:           4
        .value_kind:     by_value
      - .offset:         44
        .size:           4
        .value_kind:     by_value
      - .offset:         48
        .size:           4
        .value_kind:     by_value
      - .offset:         52
        .size:           4
        .value_kind:     by_value
      - .offset:         56
        .size:           4
        .value_kind:     by_value
    .group_segment_fixed_size: 0
    .kernarg_segment_align: 8
    .kernarg_segment_size: 60
    .language:       OpenCL C
    .language_version:
      - 2
      - 0
    .max_flat_workgroup_size: 1024
    .name:           _ZN5aiter55rope_hadamard_rotate_activation_fp4quant_inplace_kernelItLi256ELb1ELi16EEEvPT_PKS1_S4_S4_PKliiiii
    .private_segment_fixed_size: 0
    .sgpr_count:     16
    .sgpr_spill_count: 0
    .symbol:         _ZN5aiter55rope_hadamard_rotate_activation_fp4quant_inplace_kernelItLi256ELb1ELi16EEEvPT_PKS1_S4_S4_PKliiiii.kd
    .uniform_work_group_size: 1
    .uses_dynamic_stack: false
    .vgpr_count:     5
    .vgpr_spill_count: 0
    .wavefront_size: 32
    .workgroup_processor_mode: 1
  - .args:
      - .actual_access:  write_only
        .address_space:  global
        .offset:         0
        .size:           8
        .value_kind:     global_buffer
      - .actual_access:  read_only
        .address_space:  global
        .offset:         8
        .size:           8
        .value_kind:     global_buffer
      - .actual_access:  read_only
        .address_space:  global
        .offset:         16
        .size:           8
        .value_kind:     global_buffer
      - .actual_access:  read_only
        .address_space:  global
        .offset:         24
        .size:           8
        .value_kind:     global_buffer
      - .actual_access:  read_only
        .address_space:  global
        .offset:         32
        .size:           8
        .value_kind:     global_buffer
      - .offset:         40
        .size:           4
        .value_kind:     by_value
      - .offset:         44
        .size:           4
        .value_kind:     by_value
      - .offset:         48
        .size:           4
        .value_kind:     by_value
      - .offset:         52
        .size:           4
        .value_kind:     by_value
      - .offset:         56
        .size:           4
        .value_kind:     by_value
    .group_segment_fixed_size: 0
    .kernarg_segment_align: 8
    .kernarg_segment_size: 60
    .language:       OpenCL C
    .language_version:
      - 2
      - 0
    .max_flat_workgroup_size: 1024
    .name:           _ZN5aiter55rope_hadamard_rotate_activation_fp4quant_inplace_kernelIDF16_Li512ELb1ELi16EEEvPT_PKS1_S4_S4_PKliiiii
    .private_segment_fixed_size: 0
    .sgpr_count:     16
    .sgpr_spill_count: 0
    .symbol:         _ZN5aiter55rope_hadamard_rotate_activation_fp4quant_inplace_kernelIDF16_Li512ELb1ELi16EEEvPT_PKS1_S4_S4_PKliiiii.kd
    .uniform_work_group_size: 1
    .uses_dynamic_stack: false
    .vgpr_count:     5
    .vgpr_spill_count: 0
    .wavefront_size: 32
    .workgroup_processor_mode: 1
  - .args:
      - .actual_access:  write_only
        .address_space:  global
        .offset:         0
        .size:           8
        .value_kind:     global_buffer
      - .actual_access:  read_only
        .address_space:  global
        .offset:         8
        .size:           8
        .value_kind:     global_buffer
      - .actual_access:  read_only
        .address_space:  global
        .offset:         16
        .size:           8
        .value_kind:     global_buffer
      - .actual_access:  read_only
        .address_space:  global
        .offset:         24
        .size:           8
        .value_kind:     global_buffer
      - .actual_access:  read_only
        .address_space:  global
        .offset:         32
        .size:           8
        .value_kind:     global_buffer
      - .offset:         40
        .size:           4
        .value_kind:     by_value
      - .offset:         44
        .size:           4
        .value_kind:     by_value
      - .offset:         48
        .size:           4
        .value_kind:     by_value
      - .offset:         52
        .size:           4
        .value_kind:     by_value
      - .offset:         56
        .size:           4
        .value_kind:     by_value
    .group_segment_fixed_size: 0
    .kernarg_segment_align: 8
    .kernarg_segment_size: 60
    .language:       OpenCL C
    .language_version:
      - 2
      - 0
    .max_flat_workgroup_size: 1024
    .name:           _ZN5aiter55rope_hadamard_rotate_activation_fp4quant_inplace_kernelItLi512ELb1ELi16EEEvPT_PKS1_S4_S4_PKliiiii
    .private_segment_fixed_size: 0
    .sgpr_count:     16
    .sgpr_spill_count: 0
    .symbol:         _ZN5aiter55rope_hadamard_rotate_activation_fp4quant_inplace_kernelItLi512ELb1ELi16EEEvPT_PKS1_S4_S4_PKliiiii.kd
    .uniform_work_group_size: 1
    .uses_dynamic_stack: false
    .vgpr_count:     5
    .vgpr_spill_count: 0
    .wavefront_size: 32
    .workgroup_processor_mode: 1
  - .args:
      - .actual_access:  write_only
        .address_space:  global
        .offset:         0
        .size:           8
        .value_kind:     global_buffer
      - .actual_access:  read_only
        .address_space:  global
        .offset:         8
        .size:           8
        .value_kind:     global_buffer
      - .actual_access:  read_only
        .address_space:  global
        .offset:         16
        .size:           8
        .value_kind:     global_buffer
      - .actual_access:  read_only
        .address_space:  global
        .offset:         24
        .size:           8
        .value_kind:     global_buffer
      - .actual_access:  read_only
        .address_space:  global
        .offset:         32
        .size:           8
        .value_kind:     global_buffer
      - .offset:         40
        .size:           4
        .value_kind:     by_value
      - .offset:         44
        .size:           4
        .value_kind:     by_value
      - .offset:         48
        .size:           4
        .value_kind:     by_value
      - .offset:         52
        .size:           4
        .value_kind:     by_value
      - .offset:         56
        .size:           4
        .value_kind:     by_value
    .group_segment_fixed_size: 0
    .kernarg_segment_align: 8
    .kernarg_segment_size: 60
    .language:       OpenCL C
    .language_version:
      - 2
      - 0
    .max_flat_workgroup_size: 1024
    .name:           _ZN5aiter55rope_hadamard_rotate_activation_fp4quant_inplace_kernelIDF16_Li1024ELb1ELi32EEEvPT_PKS1_S4_S4_PKliiiii
    .private_segment_fixed_size: 0
    .sgpr_count:     16
    .sgpr_spill_count: 0
    .symbol:         _ZN5aiter55rope_hadamard_rotate_activation_fp4quant_inplace_kernelIDF16_Li1024ELb1ELi32EEEvPT_PKS1_S4_S4_PKliiiii.kd
    .uniform_work_group_size: 1
    .uses_dynamic_stack: false
    .vgpr_count:     5
    .vgpr_spill_count: 0
    .wavefront_size: 32
    .workgroup_processor_mode: 1
  - .args:
      - .actual_access:  write_only
        .address_space:  global
        .offset:         0
        .size:           8
        .value_kind:     global_buffer
      - .actual_access:  read_only
        .address_space:  global
        .offset:         8
        .size:           8
        .value_kind:     global_buffer
      - .actual_access:  read_only
        .address_space:  global
        .offset:         16
        .size:           8
        .value_kind:     global_buffer
      - .actual_access:  read_only
        .address_space:  global
        .offset:         24
        .size:           8
        .value_kind:     global_buffer
      - .actual_access:  read_only
        .address_space:  global
        .offset:         32
        .size:           8
        .value_kind:     global_buffer
      - .offset:         40
        .size:           4
        .value_kind:     by_value
      - .offset:         44
        .size:           4
        .value_kind:     by_value
      - .offset:         48
        .size:           4
        .value_kind:     by_value
      - .offset:         52
        .size:           4
        .value_kind:     by_value
      - .offset:         56
        .size:           4
        .value_kind:     by_value
    .group_segment_fixed_size: 0
    .kernarg_segment_align: 8
    .kernarg_segment_size: 60
    .language:       OpenCL C
    .language_version:
      - 2
      - 0
    .max_flat_workgroup_size: 1024
    .name:           _ZN5aiter55rope_hadamard_rotate_activation_fp4quant_inplace_kernelItLi1024ELb1ELi32EEEvPT_PKS1_S4_S4_PKliiiii
    .private_segment_fixed_size: 0
    .sgpr_count:     16
    .sgpr_spill_count: 0
    .symbol:         _ZN5aiter55rope_hadamard_rotate_activation_fp4quant_inplace_kernelItLi1024ELb1ELi32EEEvPT_PKS1_S4_S4_PKliiiii.kd
    .uniform_work_group_size: 1
    .uses_dynamic_stack: false
    .vgpr_count:     5
    .vgpr_spill_count: 0
    .wavefront_size: 32
    .workgroup_processor_mode: 1
  - .args:
      - .actual_access:  write_only
        .address_space:  global
        .offset:         0
        .size:           8
        .value_kind:     global_buffer
      - .actual_access:  read_only
        .address_space:  global
        .offset:         8
        .size:           8
        .value_kind:     global_buffer
      - .actual_access:  read_only
        .address_space:  global
        .offset:         16
        .size:           8
        .value_kind:     global_buffer
      - .actual_access:  read_only
        .address_space:  global
        .offset:         24
        .size:           8
        .value_kind:     global_buffer
      - .actual_access:  read_only
        .address_space:  global
        .offset:         32
        .size:           8
        .value_kind:     global_buffer
      - .offset:         40
        .size:           4
        .value_kind:     by_value
      - .offset:         44
        .size:           4
        .value_kind:     by_value
      - .offset:         48
        .size:           4
        .value_kind:     by_value
      - .offset:         52
        .size:           4
        .value_kind:     by_value
      - .offset:         56
        .size:           4
        .value_kind:     by_value
    .group_segment_fixed_size: 0
    .kernarg_segment_align: 8
    .kernarg_segment_size: 60
    .language:       OpenCL C
    .language_version:
      - 2
      - 0
    .max_flat_workgroup_size: 1024
    .name:           _ZN5aiter55rope_hadamard_rotate_activation_fp4quant_inplace_kernelIDF16_Li128ELb0ELi16EEEvPT_PKS1_S4_S4_PKliiiii
    .private_segment_fixed_size: 0
    .sgpr_count:     22
    .sgpr_spill_count: 0
    .symbol:         _ZN5aiter55rope_hadamard_rotate_activation_fp4quant_inplace_kernelIDF16_Li128ELb0ELi16EEEvPT_PKS1_S4_S4_PKliiiii.kd
    .uniform_work_group_size: 1
    .uses_dynamic_stack: false
    .vgpr_count:     42
    .vgpr_spill_count: 0
    .wavefront_size: 32
    .workgroup_processor_mode: 1
  - .args:
      - .actual_access:  write_only
        .address_space:  global
        .offset:         0
        .size:           8
        .value_kind:     global_buffer
      - .actual_access:  read_only
        .address_space:  global
        .offset:         8
        .size:           8
        .value_kind:     global_buffer
      - .actual_access:  read_only
        .address_space:  global
        .offset:         16
        .size:           8
        .value_kind:     global_buffer
      - .actual_access:  read_only
        .address_space:  global
        .offset:         24
        .size:           8
        .value_kind:     global_buffer
      - .actual_access:  read_only
        .address_space:  global
        .offset:         32
        .size:           8
        .value_kind:     global_buffer
      - .offset:         40
        .size:           4
        .value_kind:     by_value
      - .offset:         44
        .size:           4
        .value_kind:     by_value
      - .offset:         48
        .size:           4
        .value_kind:     by_value
      - .offset:         52
        .size:           4
        .value_kind:     by_value
      - .offset:         56
        .size:           4
        .value_kind:     by_value
    .group_segment_fixed_size: 0
    .kernarg_segment_align: 8
    .kernarg_segment_size: 60
    .language:       OpenCL C
    .language_version:
      - 2
      - 0
    .max_flat_workgroup_size: 1024
    .name:           _ZN5aiter55rope_hadamard_rotate_activation_fp4quant_inplace_kernelItLi128ELb0ELi16EEEvPT_PKS1_S4_S4_PKliiiii
    .private_segment_fixed_size: 0
    .sgpr_count:     22
    .sgpr_spill_count: 0
    .symbol:         _ZN5aiter55rope_hadamard_rotate_activation_fp4quant_inplace_kernelItLi128ELb0ELi16EEEvPT_PKS1_S4_S4_PKliiiii.kd
    .uniform_work_group_size: 1
    .uses_dynamic_stack: false
    .vgpr_count:     43
    .vgpr_spill_count: 0
    .wavefront_size: 32
    .workgroup_processor_mode: 1
  - .args:
      - .actual_access:  write_only
        .address_space:  global
        .offset:         0
        .size:           8
        .value_kind:     global_buffer
      - .actual_access:  read_only
        .address_space:  global
        .offset:         8
        .size:           8
        .value_kind:     global_buffer
      - .actual_access:  read_only
        .address_space:  global
        .offset:         16
        .size:           8
        .value_kind:     global_buffer
      - .actual_access:  read_only
        .address_space:  global
        .offset:         24
        .size:           8
        .value_kind:     global_buffer
      - .actual_access:  read_only
        .address_space:  global
        .offset:         32
        .size:           8
        .value_kind:     global_buffer
      - .offset:         40
        .size:           4
        .value_kind:     by_value
      - .offset:         44
        .size:           4
        .value_kind:     by_value
      - .offset:         48
        .size:           4
        .value_kind:     by_value
      - .offset:         52
        .size:           4
        .value_kind:     by_value
      - .offset:         56
        .size:           4
        .value_kind:     by_value
    .group_segment_fixed_size: 0
    .kernarg_segment_align: 8
    .kernarg_segment_size: 60
    .language:       OpenCL C
    .language_version:
      - 2
      - 0
    .max_flat_workgroup_size: 1024
    .name:           _ZN5aiter55rope_hadamard_rotate_activation_fp4quant_inplace_kernelIDF16_Li256ELb0ELi16EEEvPT_PKS1_S4_S4_PKliiiii
    .private_segment_fixed_size: 0
    .sgpr_count:     22
    .sgpr_spill_count: 0
    .symbol:         _ZN5aiter55rope_hadamard_rotate_activation_fp4quant_inplace_kernelIDF16_Li256ELb0ELi16EEEvPT_PKS1_S4_S4_PKliiiii.kd
    .uniform_work_group_size: 1
    .uses_dynamic_stack: false
    .vgpr_count:     42
    .vgpr_spill_count: 0
    .wavefront_size: 32
    .workgroup_processor_mode: 1
  - .args:
      - .actual_access:  write_only
        .address_space:  global
        .offset:         0
        .size:           8
        .value_kind:     global_buffer
      - .actual_access:  read_only
        .address_space:  global
        .offset:         8
        .size:           8
        .value_kind:     global_buffer
      - .actual_access:  read_only
        .address_space:  global
        .offset:         16
        .size:           8
        .value_kind:     global_buffer
      - .actual_access:  read_only
        .address_space:  global
        .offset:         24
        .size:           8
        .value_kind:     global_buffer
      - .actual_access:  read_only
        .address_space:  global
        .offset:         32
        .size:           8
        .value_kind:     global_buffer
      - .offset:         40
        .size:           4
        .value_kind:     by_value
      - .offset:         44
        .size:           4
        .value_kind:     by_value
      - .offset:         48
        .size:           4
        .value_kind:     by_value
      - .offset:         52
        .size:           4
        .value_kind:     by_value
      - .offset:         56
        .size:           4
        .value_kind:     by_value
    .group_segment_fixed_size: 0
    .kernarg_segment_align: 8
    .kernarg_segment_size: 60
    .language:       OpenCL C
    .language_version:
      - 2
      - 0
    .max_flat_workgroup_size: 1024
    .name:           _ZN5aiter55rope_hadamard_rotate_activation_fp4quant_inplace_kernelItLi256ELb0ELi16EEEvPT_PKS1_S4_S4_PKliiiii
    .private_segment_fixed_size: 0
    .sgpr_count:     22
    .sgpr_spill_count: 0
    .symbol:         _ZN5aiter55rope_hadamard_rotate_activation_fp4quant_inplace_kernelItLi256ELb0ELi16EEEvPT_PKS1_S4_S4_PKliiiii.kd
    .uniform_work_group_size: 1
    .uses_dynamic_stack: false
    .vgpr_count:     43
    .vgpr_spill_count: 0
    .wavefront_size: 32
    .workgroup_processor_mode: 1
  - .args:
      - .actual_access:  write_only
        .address_space:  global
        .offset:         0
        .size:           8
        .value_kind:     global_buffer
      - .actual_access:  read_only
        .address_space:  global
        .offset:         8
        .size:           8
        .value_kind:     global_buffer
      - .actual_access:  read_only
        .address_space:  global
        .offset:         16
        .size:           8
        .value_kind:     global_buffer
      - .actual_access:  read_only
        .address_space:  global
        .offset:         24
        .size:           8
        .value_kind:     global_buffer
      - .actual_access:  read_only
        .address_space:  global
        .offset:         32
        .size:           8
        .value_kind:     global_buffer
      - .offset:         40
        .size:           4
        .value_kind:     by_value
      - .offset:         44
        .size:           4
        .value_kind:     by_value
      - .offset:         48
        .size:           4
        .value_kind:     by_value
      - .offset:         52
        .size:           4
        .value_kind:     by_value
      - .offset:         56
        .size:           4
        .value_kind:     by_value
    .group_segment_fixed_size: 0
    .kernarg_segment_align: 8
    .kernarg_segment_size: 60
    .language:       OpenCL C
    .language_version:
      - 2
      - 0
    .max_flat_workgroup_size: 1024
    .name:           _ZN5aiter55rope_hadamard_rotate_activation_fp4quant_inplace_kernelIDF16_Li512ELb0ELi16EEEvPT_PKS1_S4_S4_PKliiiii
    .private_segment_fixed_size: 0
    .sgpr_count:     22
    .sgpr_spill_count: 0
    .symbol:         _ZN5aiter55rope_hadamard_rotate_activation_fp4quant_inplace_kernelIDF16_Li512ELb0ELi16EEEvPT_PKS1_S4_S4_PKliiiii.kd
    .uniform_work_group_size: 1
    .uses_dynamic_stack: false
    .vgpr_count:     42
    .vgpr_spill_count: 0
    .wavefront_size: 32
    .workgroup_processor_mode: 1
  - .args:
      - .actual_access:  write_only
        .address_space:  global
        .offset:         0
        .size:           8
        .value_kind:     global_buffer
      - .actual_access:  read_only
        .address_space:  global
        .offset:         8
        .size:           8
        .value_kind:     global_buffer
      - .actual_access:  read_only
        .address_space:  global
        .offset:         16
        .size:           8
        .value_kind:     global_buffer
      - .actual_access:  read_only
        .address_space:  global
        .offset:         24
        .size:           8
        .value_kind:     global_buffer
      - .actual_access:  read_only
        .address_space:  global
        .offset:         32
        .size:           8
        .value_kind:     global_buffer
      - .offset:         40
        .size:           4
        .value_kind:     by_value
      - .offset:         44
        .size:           4
        .value_kind:     by_value
      - .offset:         48
        .size:           4
        .value_kind:     by_value
      - .offset:         52
        .size:           4
        .value_kind:     by_value
      - .offset:         56
        .size:           4
        .value_kind:     by_value
    .group_segment_fixed_size: 0
    .kernarg_segment_align: 8
    .kernarg_segment_size: 60
    .language:       OpenCL C
    .language_version:
      - 2
      - 0
    .max_flat_workgroup_size: 1024
    .name:           _ZN5aiter55rope_hadamard_rotate_activation_fp4quant_inplace_kernelItLi512ELb0ELi16EEEvPT_PKS1_S4_S4_PKliiiii
    .private_segment_fixed_size: 0
    .sgpr_count:     22
    .sgpr_spill_count: 0
    .symbol:         _ZN5aiter55rope_hadamard_rotate_activation_fp4quant_inplace_kernelItLi512ELb0ELi16EEEvPT_PKS1_S4_S4_PKliiiii.kd
    .uniform_work_group_size: 1
    .uses_dynamic_stack: false
    .vgpr_count:     43
    .vgpr_spill_count: 0
    .wavefront_size: 32
    .workgroup_processor_mode: 1
  - .args:
      - .actual_access:  write_only
        .address_space:  global
        .offset:         0
        .size:           8
        .value_kind:     global_buffer
      - .actual_access:  read_only
        .address_space:  global
        .offset:         8
        .size:           8
        .value_kind:     global_buffer
      - .actual_access:  read_only
        .address_space:  global
        .offset:         16
        .size:           8
        .value_kind:     global_buffer
      - .actual_access:  read_only
        .address_space:  global
        .offset:         24
        .size:           8
        .value_kind:     global_buffer
      - .actual_access:  read_only
        .address_space:  global
        .offset:         32
        .size:           8
        .value_kind:     global_buffer
      - .offset:         40
        .size:           4
        .value_kind:     by_value
      - .offset:         44
        .size:           4
        .value_kind:     by_value
      - .offset:         48
        .size:           4
        .value_kind:     by_value
      - .offset:         52
        .size:           4
        .value_kind:     by_value
      - .offset:         56
        .size:           4
        .value_kind:     by_value
    .group_segment_fixed_size: 0
    .kernarg_segment_align: 8
    .kernarg_segment_size: 60
    .language:       OpenCL C
    .language_version:
      - 2
      - 0
    .max_flat_workgroup_size: 1024
    .name:           _ZN5aiter55rope_hadamard_rotate_activation_fp4quant_inplace_kernelIDF16_Li1024ELb0ELi32EEEvPT_PKS1_S4_S4_PKliiiii
    .private_segment_fixed_size: 0
    .sgpr_count:     22
    .sgpr_spill_count: 0
    .symbol:         _ZN5aiter55rope_hadamard_rotate_activation_fp4quant_inplace_kernelIDF16_Li1024ELb0ELi32EEEvPT_PKS1_S4_S4_PKliiiii.kd
    .uniform_work_group_size: 1
    .uses_dynamic_stack: false
    .vgpr_count:     83
    .vgpr_spill_count: 0
    .wavefront_size: 32
    .workgroup_processor_mode: 1
  - .args:
      - .actual_access:  write_only
        .address_space:  global
        .offset:         0
        .size:           8
        .value_kind:     global_buffer
      - .actual_access:  read_only
        .address_space:  global
        .offset:         8
        .size:           8
        .value_kind:     global_buffer
      - .actual_access:  read_only
        .address_space:  global
        .offset:         16
        .size:           8
        .value_kind:     global_buffer
      - .actual_access:  read_only
        .address_space:  global
        .offset:         24
        .size:           8
        .value_kind:     global_buffer
      - .actual_access:  read_only
        .address_space:  global
        .offset:         32
        .size:           8
        .value_kind:     global_buffer
      - .offset:         40
        .size:           4
        .value_kind:     by_value
      - .offset:         44
        .size:           4
        .value_kind:     by_value
      - .offset:         48
        .size:           4
        .value_kind:     by_value
      - .offset:         52
        .size:           4
        .value_kind:     by_value
      - .offset:         56
        .size:           4
        .value_kind:     by_value
    .group_segment_fixed_size: 0
    .kernarg_segment_align: 8
    .kernarg_segment_size: 60
    .language:       OpenCL C
    .language_version:
      - 2
      - 0
    .max_flat_workgroup_size: 1024
    .name:           _ZN5aiter55rope_hadamard_rotate_activation_fp4quant_inplace_kernelItLi1024ELb0ELi32EEEvPT_PKS1_S4_S4_PKliiiii
    .private_segment_fixed_size: 0
    .sgpr_count:     22
    .sgpr_spill_count: 0
    .symbol:         _ZN5aiter55rope_hadamard_rotate_activation_fp4quant_inplace_kernelItLi1024ELb0ELi32EEEvPT_PKS1_S4_S4_PKliiiii.kd
    .uniform_work_group_size: 1
    .uses_dynamic_stack: false
    .vgpr_count:     84
    .vgpr_spill_count: 0
    .wavefront_size: 32
    .workgroup_processor_mode: 1
amdhsa.target:   amdgcn-amd-amdhsa--gfx1100
amdhsa.version:
  - 1
  - 2
...

	.end_amdgpu_metadata
